;; amdgpu-corpus repo=ROCm/rocFFT kind=compiled arch=gfx950 opt=O3
	.text
	.amdgcn_target "amdgcn-amd-amdhsa--gfx950"
	.amdhsa_code_object_version 6
	.protected	bluestein_single_fwd_len847_dim1_sp_op_CI_CI ; -- Begin function bluestein_single_fwd_len847_dim1_sp_op_CI_CI
	.globl	bluestein_single_fwd_len847_dim1_sp_op_CI_CI
	.p2align	8
	.type	bluestein_single_fwd_len847_dim1_sp_op_CI_CI,@function
bluestein_single_fwd_len847_dim1_sp_op_CI_CI: ; @bluestein_single_fwd_len847_dim1_sp_op_CI_CI
; %bb.0:
	s_load_dwordx4 s[16:19], s[0:1], 0x28
	v_mul_u32_u24_e32 v1, 0x354, v0
	v_lshrrev_b32_e32 v2, 16, v1
	v_mad_u64_u32 v[74:75], s[2:3], s2, 3, v[2:3]
	v_mov_b32_e32 v75, 0
	s_waitcnt lgkmcnt(0)
	v_cmp_gt_u64_e32 vcc, s[16:17], v[74:75]
	s_and_saveexec_b64 s[2:3], vcc
	s_cbranch_execz .LBB0_10
; %bb.1:
	s_load_dwordx4 s[4:7], s[0:1], 0x18
	s_load_dwordx4 s[8:11], s[0:1], 0x0
	v_mul_lo_u16_e32 v1, 0x4d, v2
	v_sub_u16_e32 v126, v0, v1
	v_mov_b32_e32 v4, s18
	s_waitcnt lgkmcnt(0)
	s_load_dwordx4 s[12:15], s[4:5], 0x0
	v_mov_b32_e32 v5, s19
	v_mov_b32_e32 v24, 0x268
	v_lshlrev_b32_e32 v52, 3, v126
	global_load_dwordx2 v[86:87], v52, s[8:9]
	s_waitcnt lgkmcnt(0)
	v_mad_u64_u32 v[0:1], s[2:3], s14, v74, 0
	v_mov_b32_e32 v2, v1
	v_mad_u64_u32 v[2:3], s[2:3], s15, v74, v[2:3]
	v_mov_b32_e32 v1, v2
	v_mad_u64_u32 v[2:3], s[2:3], s12, v126, 0
	v_mov_b32_e32 v6, v3
	v_mad_u64_u32 v[6:7], s[2:3], s13, v126, v[6:7]
	v_mov_b32_e32 v3, v6
	v_lshl_add_u64 v[0:1], v[0:1], 3, v[4:5]
	v_lshl_add_u64 v[0:1], v[2:3], 3, v[0:1]
	global_load_dwordx2 v[2:3], v[0:1], off
	v_mad_u64_u32 v[0:1], s[2:3], s12, v24, v[0:1]
	s_mul_i32 s4, s13, 0x268
	v_add_u32_e32 v1, s4, v1
	global_load_dwordx2 v[6:7], v[0:1], off
	v_mad_u64_u32 v[0:1], s[2:3], s12, v24, v[0:1]
	v_add_u32_e32 v1, s4, v1
	v_mad_u64_u32 v[8:9], s[2:3], s12, v24, v[0:1]
	v_add_u32_e32 v9, s4, v9
	;; [unrolled: 2-line block ×3, first 2 shown]
	global_load_dwordx2 v[84:85], v52, s[8:9] offset:616
	global_load_dwordx2 v[80:81], v52, s[8:9] offset:1232
	;; [unrolled: 1-line block ×3, first 2 shown]
	global_load_dwordx2 v[12:13], v[0:1], off
	global_load_dwordx2 v[14:15], v[8:9], off
	;; [unrolled: 1-line block ×3, first 2 shown]
	v_mad_u64_u32 v[0:1], s[2:3], s12, v24, v[10:11]
	v_add_u32_e32 v1, s4, v1
	global_load_dwordx2 v[8:9], v[0:1], off
	v_mad_u64_u32 v[0:1], s[2:3], s12, v24, v[0:1]
	v_add_u32_e32 v1, s4, v1
	v_mov_b32_e32 v53, v75
	global_load_dwordx2 v[82:83], v52, s[8:9] offset:2464
	global_load_dwordx2 v[10:11], v[0:1], off
	global_load_dwordx2 v[78:79], v52, s[8:9] offset:3080
	global_load_dwordx2 v[70:71], v52, s[8:9] offset:3696
	v_mad_u64_u32 v[0:1], s[2:3], s12, v24, v[0:1]
	v_lshl_add_u64 v[4:5], s[8:9], 0, v[52:53]
	v_add_u32_e32 v1, s4, v1
	s_movk_i32 s2, 0x1000
	global_load_dwordx2 v[18:19], v[0:1], off
	v_add_co_u32_e32 v4, vcc, s2, v4
	v_mad_u64_u32 v[0:1], s[2:3], s12, v24, v[0:1]
	s_nop 0
	v_addc_co_u32_e32 v5, vcc, 0, v5, vcc
	v_add_u32_e32 v1, s4, v1
	global_load_dwordx2 v[72:73], v[4:5], off offset:216
	global_load_dwordx2 v[20:21], v[0:1], off
	global_load_dwordx2 v[68:69], v[4:5], off offset:832
	v_mad_u64_u32 v[0:1], s[2:3], s12, v24, v[0:1]
	v_add_u32_e32 v1, s4, v1
	global_load_dwordx2 v[22:23], v[0:1], off
	global_load_dwordx2 v[66:67], v[4:5], off offset:1448
	v_mad_u64_u32 v[0:1], s[2:3], s12, v24, v[0:1]
	v_add_u32_e32 v1, s4, v1
	global_load_dwordx2 v[64:65], v[4:5], off offset:2064
	global_load_dwordx2 v[24:25], v[0:1], off
	s_mov_b32 s2, 0xaaaaaaab
	v_mul_hi_u32 v0, v74, s2
	v_lshrrev_b32_e32 v0, 1, v0
	v_lshl_add_u32 v0, v0, 1, v0
	v_sub_u32_e32 v0, v74, v0
	v_mul_u32_u24_e32 v0, 0x34f, v0
	v_lshlrev_b32_e32 v127, 3, v0
	v_add_u32_e32 v75, v52, v127
	s_load_dwordx4 s[4:7], s[6:7], 0x0
	s_mov_b32 s18, 0xbf0a6770
	s_mov_b32 s12, 0x3f575c64
	;; [unrolled: 1-line block ×12, first 2 shown]
	v_cmp_gt_u16_e32 vcc, 44, v126
	s_waitcnt vmcnt(20)
	v_mul_f32_e32 v0, v3, v87
	v_mul_f32_e32 v1, v2, v87
	v_fmac_f32_e32 v0, v2, v86
	v_fma_f32 v1, v3, v86, -v1
	s_waitcnt vmcnt(18)
	v_mul_f32_e32 v2, v7, v85
	v_mul_f32_e32 v3, v6, v85
	v_fmac_f32_e32 v2, v6, v84
	v_fma_f32 v3, v7, v84, -v3
	ds_write2_b64 v75, v[0:1], v[2:3] offset1:77
	s_waitcnt vmcnt(15)
	v_mul_f32_e32 v0, v13, v81
	v_mul_f32_e32 v1, v12, v81
	s_waitcnt vmcnt(14)
	v_mul_f32_e32 v2, v15, v77
	v_mul_f32_e32 v3, v14, v77
	v_fmac_f32_e32 v0, v12, v80
	v_fma_f32 v1, v13, v80, -v1
	v_fmac_f32_e32 v2, v14, v76
	v_fma_f32 v3, v15, v76, -v3
	ds_write2_b64 v75, v[0:1], v[2:3] offset0:154 offset1:231
	s_waitcnt vmcnt(11)
	v_mul_f32_e32 v0, v17, v83
	v_mul_f32_e32 v1, v16, v83
	s_waitcnt vmcnt(9)
	v_mul_f32_e32 v2, v9, v79
	v_mul_f32_e32 v3, v8, v79
	v_fmac_f32_e32 v0, v16, v82
	v_fma_f32 v1, v17, v82, -v1
	v_fmac_f32_e32 v2, v8, v78
	v_fma_f32 v3, v9, v78, -v3
	v_add_u32_e32 v16, 0x800, v75
	ds_write2_b64 v16, v[0:1], v[2:3] offset0:52 offset1:129
	s_waitcnt vmcnt(8)
	v_mul_f32_e32 v0, v11, v71
	v_mul_f32_e32 v1, v10, v71
	v_fmac_f32_e32 v0, v10, v70
	s_waitcnt vmcnt(6)
	v_mul_f32_e32 v2, v19, v73
	v_mul_f32_e32 v3, v18, v73
	v_fma_f32 v1, v11, v70, -v1
	v_fmac_f32_e32 v2, v18, v72
	v_fma_f32 v3, v19, v72, -v3
	v_add_u32_e32 v18, 0xc00, v75
	ds_write2_b64 v18, v[0:1], v[2:3] offset0:78 offset1:155
	s_waitcnt vmcnt(4)
	v_mul_f32_e32 v0, v21, v69
	v_mul_f32_e32 v1, v20, v69
	s_waitcnt vmcnt(2)
	v_mul_f32_e32 v2, v23, v67
	v_mul_f32_e32 v3, v22, v67
	v_fmac_f32_e32 v0, v20, v68
	v_fma_f32 v1, v21, v68, -v1
	v_fmac_f32_e32 v2, v22, v66
	v_fma_f32 v3, v23, v66, -v3
	v_add_u32_e32 v17, 0x1000, v75
	ds_write2_b64 v17, v[0:1], v[2:3] offset0:104 offset1:181
	s_waitcnt vmcnt(0)
	v_mul_f32_e32 v0, v25, v65
	v_mul_f32_e32 v1, v24, v65
	v_fmac_f32_e32 v0, v24, v64
	v_fma_f32 v1, v25, v64, -v1
	ds_write_b64 v75, v[0:1] offset:6160
	s_waitcnt lgkmcnt(0)
	s_barrier
	ds_read2_b64 v[10:13], v16 offset0:52 offset1:129
	ds_read2_b64 v[20:23], v18 offset0:78 offset1:155
	ds_read2_b64 v[0:3], v75 offset1:77
	ds_read2_b64 v[24:27], v75 offset0:154 offset1:231
	ds_read2_b64 v[28:31], v17 offset0:104 offset1:181
	s_waitcnt lgkmcnt(2)
	v_pk_add_f32 v[14:15], v[0:1], v[2:3]
	s_waitcnt lgkmcnt(1)
	v_pk_add_f32 v[14:15], v[14:15], v[24:25]
	v_pk_add_f32 v[4:5], v[20:21], v[12:13]
	;; [unrolled: 1-line block ×3, first 2 shown]
	v_pk_add_f32 v[6:7], v[12:13], v[20:21] neg_lo:[0,1] neg_hi:[0,1]
	v_pk_add_f32 v[14:15], v[14:15], v[10:11]
	v_pk_add_f32 v[8:9], v[22:23], v[10:11]
	;; [unrolled: 1-line block ×3, first 2 shown]
	ds_read_b64 v[14:15], v75 offset:6160
	v_pk_add_f32 v[12:13], v[12:13], v[20:21]
	v_pk_add_f32 v[10:11], v[10:11], v[22:23] neg_lo:[0,1] neg_hi:[0,1]
	v_pk_add_f32 v[12:13], v[12:13], v[22:23]
	s_waitcnt lgkmcnt(1)
	v_pk_add_f32 v[32:33], v[30:31], v[24:25]
	v_pk_add_f32 v[20:21], v[24:25], v[30:31] neg_lo:[0,1] neg_hi:[0,1]
	v_pk_add_f32 v[22:23], v[28:29], v[26:27]
	v_pk_add_f32 v[24:25], v[26:27], v[28:29] neg_lo:[0,1] neg_hi:[0,1]
	v_pk_add_f32 v[12:13], v[12:13], v[28:29]
	s_waitcnt lgkmcnt(0)
	v_pk_add_f32 v[28:29], v[2:3], v[14:15] neg_lo:[0,1] neg_hi:[0,1]
	v_pk_add_f32 v[12:13], v[12:13], v[30:31]
	v_pk_add_f32 v[26:27], v[14:15], v[2:3]
	v_pk_mul_f32 v[2:3], v[28:29], s[18:19] op_sel_hi:[1,0]
	v_pk_add_f32 v[30:31], v[12:13], v[14:15]
	v_pk_fma_f32 v[12:13], v[26:27], s[12:13], v[2:3] op_sel:[0,0,1] op_sel_hi:[1,0,0]
	v_pk_fma_f32 v[34:35], v[26:27], s[12:13], v[2:3] op_sel:[0,0,1] op_sel_hi:[1,0,0] neg_lo:[0,0,1] neg_hi:[0,0,1]
	v_pk_mul_f32 v[14:15], v[20:21], s[28:29] op_sel_hi:[1,0]
	s_nop 0
	v_pk_fma_f32 v[2:3], v[32:33], s[2:3], v[14:15] op_sel:[0,0,1] op_sel_hi:[1,0,0]
	v_pk_fma_f32 v[36:37], v[32:33], s[2:3], v[14:15] op_sel:[0,0,1] op_sel_hi:[1,0,0] neg_lo:[0,0,1] neg_hi:[0,0,1]
	v_mov_b32_e32 v15, v35
	v_mov_b32_e32 v35, v13
	v_pk_add_f32 v[34:35], v[0:1], v[34:35]
	v_mov_b32_e32 v13, v37
	v_mov_b32_e32 v37, v3
	v_pk_add_f32 v[34:35], v[36:37], v[34:35]
	v_pk_mul_f32 v[36:37], v[24:25], s[16:17] op_sel_hi:[1,0]
	v_mul_lo_u16_e32 v14, 11, v126
	v_pk_fma_f32 v[38:39], v[22:23], s[14:15], v[36:37] op_sel:[0,0,1] op_sel_hi:[1,0,0]
	v_pk_fma_f32 v[36:37], v[22:23], s[14:15], v[36:37] op_sel:[0,0,1] op_sel_hi:[1,0,0] neg_lo:[0,0,1] neg_hi:[0,0,1]
	v_lshl_add_u32 v128, v14, 3, v127
	v_mov_b32_e32 v3, v37
	v_mov_b32_e32 v37, v39
	v_pk_add_f32 v[34:35], v[36:37], v[34:35]
	v_pk_mul_f32 v[36:37], v[10:11], s[22:23] op_sel_hi:[1,0]
	s_barrier
	v_pk_fma_f32 v[40:41], v[8:9], s[20:21], v[36:37] op_sel:[0,0,1] op_sel_hi:[1,0,0]
	v_pk_fma_f32 v[36:37], v[8:9], s[20:21], v[36:37] op_sel:[0,0,1] op_sel_hi:[1,0,0] neg_lo:[0,0,1] neg_hi:[0,0,1]
	s_nop 0
	v_mov_b32_e32 v39, v37
	v_mov_b32_e32 v37, v41
	v_pk_add_f32 v[34:35], v[36:37], v[34:35]
	v_pk_mul_f32 v[36:37], v[6:7], s[26:27] op_sel_hi:[1,0]
	v_pk_mul_f32 v[60:61], v[20:21], s[30:31] op_sel_hi:[1,0]
	v_pk_fma_f32 v[42:43], v[4:5], s[24:25], v[36:37] op_sel:[0,0,1] op_sel_hi:[1,0,0]
	v_pk_fma_f32 v[36:37], v[4:5], s[24:25], v[36:37] op_sel:[0,0,1] op_sel_hi:[1,0,0] neg_lo:[0,0,1] neg_hi:[0,0,1]
	v_pk_fma_f32 v[62:63], v[32:33], s[24:25], v[60:61] op_sel:[0,0,1] op_sel_hi:[1,0,0]
	v_mov_b32_e32 v45, v37
	v_mov_b32_e32 v37, v43
	v_pk_add_f32 v[34:35], v[36:37], v[34:35]
	ds_write2_b64 v128, v[30:31], v[34:35] offset1:1
	v_pk_mul_f32 v[30:31], v[28:29], s[28:29] op_sel_hi:[1,0]
	v_pk_mul_f32 v[36:37], v[20:21], s[22:23] op_sel_hi:[1,0]
	v_pk_fma_f32 v[34:35], v[26:27], s[2:3], v[30:31] op_sel:[0,0,1] op_sel_hi:[1,0,0]
	v_pk_fma_f32 v[30:31], v[26:27], s[2:3], v[30:31] op_sel:[0,0,1] op_sel_hi:[1,0,0] neg_lo:[0,0,1] neg_hi:[0,0,1]
	v_pk_fma_f32 v[46:47], v[32:33], s[20:21], v[36:37] op_sel:[0,0,1] op_sel_hi:[1,0,0]
	v_pk_fma_f32 v[36:37], v[32:33], s[20:21], v[36:37] op_sel:[0,0,1] op_sel_hi:[1,0,0] neg_lo:[0,0,1] neg_hi:[0,0,1]
	v_mov_b32_e32 v49, v31
	v_mov_b32_e32 v31, v35
	v_pk_add_f32 v[30:31], v[0:1], v[30:31]
	v_mov_b32_e32 v35, v37
	v_mov_b32_e32 v37, v47
	v_pk_add_f32 v[30:31], v[36:37], v[30:31]
	v_pk_mul_f32 v[36:37], v[24:25], s[30:31] op_sel_hi:[1,0]
	s_mov_b32 s28, 0x3f0a6770
	v_pk_fma_f32 v[50:51], v[22:23], s[24:25], v[36:37] op_sel:[0,0,1] op_sel_hi:[1,0,0]
	v_pk_fma_f32 v[36:37], v[22:23], s[24:25], v[36:37] op_sel:[0,0,1] op_sel_hi:[1,0,0] neg_lo:[0,0,1] neg_hi:[0,0,1]
	v_pk_fma_f32 v[60:61], v[32:33], s[24:25], v[60:61] op_sel:[0,0,1] op_sel_hi:[1,0,0] neg_lo:[0,0,1] neg_hi:[0,0,1]
	v_mov_b32_e32 v43, v37
	v_mov_b32_e32 v37, v51
	v_pk_add_f32 v[30:31], v[36:37], v[30:31]
	v_pk_mul_f32 v[36:37], v[10:11], s[34:35] op_sel_hi:[1,0]
	v_mov_b32_e32 v51, v61
	v_pk_fma_f32 v[54:55], v[8:9], s[14:15], v[36:37] op_sel:[0,0,1] op_sel_hi:[1,0,0]
	v_pk_fma_f32 v[36:37], v[8:9], s[14:15], v[36:37] op_sel:[0,0,1] op_sel_hi:[1,0,0] neg_lo:[0,0,1] neg_hi:[0,0,1]
	v_mov_b32_e32 v61, v63
	v_mov_b32_e32 v41, v37
	;; [unrolled: 1-line block ×3, first 2 shown]
	v_pk_add_f32 v[30:31], v[36:37], v[30:31]
	v_pk_mul_f32 v[36:37], v[6:7], s[28:29] op_sel_hi:[1,0]
	s_mov_b32 s30, 0x3f68dda4
	v_pk_fma_f32 v[56:57], v[4:5], s[12:13], v[36:37] op_sel:[0,0,1] op_sel_hi:[1,0,0]
	v_pk_fma_f32 v[36:37], v[4:5], s[12:13], v[36:37] op_sel:[0,0,1] op_sel_hi:[1,0,0] neg_lo:[0,0,1] neg_hi:[0,0,1]
	v_pk_mul_f32 v[96:97], v[20:21], s[34:35] op_sel_hi:[1,0]
	v_mov_b32_e32 v47, v37
	v_mov_b32_e32 v37, v57
	v_pk_add_f32 v[30:31], v[36:37], v[30:31]
	v_pk_mul_f32 v[36:37], v[28:29], s[16:17] op_sel_hi:[1,0]
	v_pk_fma_f32 v[98:99], v[32:33], s[14:15], v[96:97] op_sel:[0,0,1] op_sel_hi:[1,0,0] neg_lo:[0,0,1] neg_hi:[0,0,1]
	v_pk_fma_f32 v[58:59], v[26:27], s[14:15], v[36:37] op_sel:[0,0,1] op_sel_hi:[1,0,0]
	v_pk_fma_f32 v[36:37], v[26:27], s[14:15], v[36:37] op_sel:[0,0,1] op_sel_hi:[1,0,0] neg_lo:[0,0,1] neg_hi:[0,0,1]
	v_pk_fma_f32 v[96:97], v[32:33], s[14:15], v[96:97] op_sel:[0,0,1] op_sel_hi:[1,0,0]
	v_mov_b32_e32 v89, v37
	v_mov_b32_e32 v37, v59
	v_pk_add_f32 v[36:37], v[0:1], v[36:37]
	v_mov_b32_e32 v100, v98
	v_pk_add_f32 v[36:37], v[60:61], v[36:37]
	v_pk_mul_f32 v[60:61], v[24:25], s[30:31] op_sel_hi:[1,0]
	v_mov_b32_e32 v101, v97
	v_pk_fma_f32 v[90:91], v[22:23], s[2:3], v[60:61] op_sel:[0,0,1] op_sel_hi:[1,0,0]
	v_pk_fma_f32 v[60:61], v[22:23], s[2:3], v[60:61] op_sel:[0,0,1] op_sel_hi:[1,0,0] neg_lo:[0,0,1] neg_hi:[0,0,1]
	v_pk_mul_f32 v[20:21], v[20:21], s[28:29] op_sel_hi:[1,0]
	v_mov_b32_e32 v57, v61
	v_mov_b32_e32 v61, v91
	v_pk_add_f32 v[36:37], v[60:61], v[36:37]
	v_pk_mul_f32 v[60:61], v[10:11], s[18:19] op_sel_hi:[1,0]
	v_mov_b32_e32 v14, v12
	v_pk_fma_f32 v[92:93], v[8:9], s[12:13], v[60:61] op_sel:[0,0,1] op_sel_hi:[1,0,0]
	v_pk_fma_f32 v[60:61], v[8:9], s[12:13], v[60:61] op_sel:[0,0,1] op_sel_hi:[1,0,0] neg_lo:[0,0,1] neg_hi:[0,0,1]
	v_mov_b32_e32 v48, v34
	v_mov_b32_e32 v55, v61
	;; [unrolled: 1-line block ×3, first 2 shown]
	v_pk_add_f32 v[36:37], v[60:61], v[36:37]
	v_pk_mul_f32 v[60:61], v[6:7], s[22:23] op_sel_hi:[1,0]
	v_mov_b32_e32 v12, v2
	v_pk_fma_f32 v[94:95], v[4:5], s[20:21], v[60:61] op_sel:[0,0,1] op_sel_hi:[1,0,0]
	v_pk_fma_f32 v[60:61], v[4:5], s[20:21], v[60:61] op_sel:[0,0,1] op_sel_hi:[1,0,0] neg_lo:[0,0,1] neg_hi:[0,0,1]
	v_mov_b32_e32 v88, v58
	v_mov_b32_e32 v59, v61
	v_mov_b32_e32 v61, v95
	v_pk_add_f32 v[36:37], v[60:61], v[36:37]
	ds_write2_b64 v128, v[30:31], v[36:37] offset0:2 offset1:3
	v_pk_mul_f32 v[30:31], v[28:29], s[22:23] op_sel_hi:[1,0]
	v_pk_mul_f32 v[28:29], v[28:29], s[26:27] op_sel_hi:[1,0]
	v_pk_fma_f32 v[36:37], v[26:27], s[20:21], v[30:31] op_sel:[0,0,1] op_sel_hi:[1,0,0] neg_lo:[0,0,1] neg_hi:[0,0,1]
	v_pk_fma_f32 v[30:31], v[26:27], s[20:21], v[30:31] op_sel:[0,0,1] op_sel_hi:[1,0,0]
	v_mov_b32_e32 v60, v36
	v_mov_b32_e32 v61, v31
	v_pk_add_f32 v[60:61], v[0:1], v[60:61]
	v_mov_b32_e32 v2, v38
	v_pk_add_f32 v[60:61], v[100:101], v[60:61]
	v_pk_mul_f32 v[100:101], v[24:25], s[18:19] op_sel_hi:[1,0]
	v_pk_mul_f32 v[24:25], v[24:25], s[22:23] op_sel_hi:[1,0]
	v_pk_fma_f32 v[102:103], v[22:23], s[12:13], v[100:101] op_sel:[0,0,1] op_sel_hi:[1,0,0] neg_lo:[0,0,1] neg_hi:[0,0,1]
	v_pk_fma_f32 v[100:101], v[22:23], s[12:13], v[100:101] op_sel:[0,0,1] op_sel_hi:[1,0,0]
	v_mov_b32_e32 v105, v103
	v_mov_b32_e32 v103, v101
	v_pk_add_f32 v[60:61], v[102:103], v[60:61]
	v_pk_mul_f32 v[102:103], v[10:11], s[26:27] op_sel_hi:[1,0]
	v_mov_b32_e32 v34, v46
	v_pk_fma_f32 v[106:107], v[8:9], s[24:25], v[102:103] op_sel:[0,0,1] op_sel_hi:[1,0,0] neg_lo:[0,0,1] neg_hi:[0,0,1]
	v_pk_fma_f32 v[102:103], v[8:9], s[24:25], v[102:103] op_sel:[0,0,1] op_sel_hi:[1,0,0]
	v_mov_b32_e32 v63, v107
	v_mov_b32_e32 v107, v103
	v_pk_add_f32 v[60:61], v[106:107], v[60:61]
	v_pk_mul_f32 v[106:107], v[6:7], s[30:31] op_sel_hi:[1,0]
	v_pk_mul_f32 v[6:7], v[6:7], s[16:17] op_sel_hi:[1,0]
	v_pk_fma_f32 v[108:109], v[4:5], s[2:3], v[106:107] op_sel:[0,0,1] op_sel_hi:[1,0,0] neg_lo:[0,0,1] neg_hi:[0,0,1]
	v_pk_fma_f32 v[106:107], v[4:5], s[2:3], v[106:107] op_sel:[0,0,1] op_sel_hi:[1,0,0]
	v_mov_b32_e32 v91, v109
	v_mov_b32_e32 v109, v107
	v_pk_add_f32 v[60:61], v[108:109], v[60:61]
	v_pk_fma_f32 v[108:109], v[26:27], s[24:25], v[28:29] op_sel:[0,0,1] op_sel_hi:[1,0,0] neg_lo:[0,0,1] neg_hi:[0,0,1]
	v_pk_fma_f32 v[26:27], v[26:27], s[24:25], v[28:29] op_sel:[0,0,1] op_sel_hi:[1,0,0]
	v_pk_fma_f32 v[28:29], v[32:33], s[12:13], v[20:21] op_sel:[0,0,1] op_sel_hi:[1,0,0] neg_lo:[0,0,1] neg_hi:[0,0,1]
	v_pk_fma_f32 v[20:21], v[32:33], s[12:13], v[20:21] op_sel:[0,0,1] op_sel_hi:[1,0,0]
	v_mov_b32_e32 v32, v108
	v_mov_b32_e32 v33, v27
	v_pk_add_f32 v[32:33], v[0:1], v[32:33]
	v_mov_b32_e32 v110, v28
	v_mov_b32_e32 v111, v21
	v_pk_add_f32 v[32:33], v[110:111], v[32:33]
	v_pk_fma_f32 v[110:111], v[22:23], s[20:21], v[24:25] op_sel:[0,0,1] op_sel_hi:[1,0,0] neg_lo:[0,0,1] neg_hi:[0,0,1]
	v_pk_fma_f32 v[22:23], v[22:23], s[20:21], v[24:25] op_sel:[0,0,1] op_sel_hi:[1,0,0]
	v_mov_b32_e32 v24, v110
	v_mov_b32_e32 v25, v23
	v_pk_add_f32 v[24:25], v[24:25], v[32:33]
	v_pk_fma_f32 v[32:33], v[4:5], s[14:15], v[6:7] op_sel:[0,0,1] op_sel_hi:[1,0,0] neg_lo:[0,0,1] neg_hi:[0,0,1]
	v_pk_fma_f32 v[4:5], v[4:5], s[14:15], v[6:7] op_sel:[0,0,1] op_sel_hi:[1,0,0]
	v_pk_mul_f32 v[6:7], v[10:11], s[30:31] op_sel_hi:[1,0]
	v_mov_b32_e32 v44, v42
	v_pk_fma_f32 v[10:11], v[8:9], s[2:3], v[6:7] op_sel:[0,0,1] op_sel_hi:[1,0,0] neg_lo:[0,0,1] neg_hi:[0,0,1]
	v_pk_fma_f32 v[6:7], v[8:9], s[2:3], v[6:7] op_sel:[0,0,1] op_sel_hi:[1,0,0]
	v_mov_b32_e32 v8, v10
	v_mov_b32_e32 v9, v7
	v_pk_add_f32 v[8:9], v[8:9], v[24:25]
	v_mov_b32_e32 v24, v32
	v_mov_b32_e32 v25, v5
	v_pk_add_f32 v[8:9], v[24:25], v[8:9]
	ds_write2_b64 v128, v[60:61], v[8:9] offset0:4 offset1:5
	v_pk_add_f32 v[8:9], v[0:1], v[14:15]
	v_pk_add_f32 v[14:15], v[0:1], v[48:49]
	;; [unrolled: 1-line block ×6, first 2 shown]
	v_mov_b32_e32 v42, v50
	v_mov_b32_e32 v50, v62
	v_pk_add_f32 v[8:9], v[42:43], v[8:9]
	v_mov_b32_e32 v46, v56
	v_pk_add_f32 v[12:13], v[50:51], v[24:25]
	v_mov_b32_e32 v56, v90
	v_mov_b32_e32 v38, v40
	;; [unrolled: 1-line block ×5, first 2 shown]
	v_pk_add_f32 v[12:13], v[56:57], v[12:13]
	v_pk_add_f32 v[8:9], v[40:41], v[8:9]
	v_mov_b32_e32 v54, v92
	v_pk_add_f32 v[30:31], v[0:1], v[30:31]
	v_pk_add_f32 v[0:1], v[0:1], v[26:27]
	v_mov_b32_e32 v58, v94
	;; [unrolled: 3-line block ×3, first 2 shown]
	v_mov_b32_e32 v21, v29
	v_mov_b32_e32 v104, v100
	v_pk_add_f32 v[48:49], v[58:59], v[8:9]
	v_pk_add_f32 v[8:9], v[96:97], v[30:31]
	;; [unrolled: 1-line block ×3, first 2 shown]
	v_mov_b32_e32 v23, v111
	v_mov_b32_e32 v62, v102
	v_pk_add_f32 v[8:9], v[104:105], v[8:9]
	v_pk_add_f32 v[0:1], v[22:23], v[0:1]
	v_mov_b32_e32 v7, v11
	v_mov_b32_e32 v90, v106
	v_pk_add_f32 v[8:9], v[62:63], v[8:9]
	v_mov_b32_e32 v5, v33
	v_pk_add_f32 v[0:1], v[6:7], v[0:1]
	v_pk_add_f32 v[2:3], v[38:39], v[2:3]
	;; [unrolled: 1-line block ×5, first 2 shown]
	ds_write2_b64 v128, v[0:1], v[26:27] offset0:6 offset1:7
	ds_write2_b64 v128, v[48:49], v[46:47] offset0:8 offset1:9
	ds_write_b64 v128, v[24:25] offset:80
	v_add_u32_e32 v0, 0x400, v75
	s_waitcnt lgkmcnt(0)
	s_barrier
	ds_read2_b64 v[32:35], v0 offset0:114 offset1:235
	ds_read2_b64 v[36:39], v18 offset0:100 offset1:221
	ds_read_b64 v[44:45], v75 offset:5808
	ds_read2_b64 v[28:31], v75 offset1:121
	s_load_dwordx2 s[12:13], s[0:1], 0x38
	v_cmp_lt_u16_e64 s[0:1], 43, v126
                                        ; implicit-def: $vgpr54
                                        ; implicit-def: $vgpr50
                                        ; implicit-def: $vgpr58
                                        ; implicit-def: $vgpr56
                                        ; implicit-def: $vgpr42
	s_and_saveexec_b64 s[2:3], vcc
	s_cbranch_execz .LBB0_3
; %bb.2:
	ds_read2_b64 v[0:3], v75 offset0:77 offset1:198
	ds_read2_b64 v[22:25], v16 offset0:63 offset1:184
	;; [unrolled: 1-line block ×3, first 2 shown]
	ds_read_b64 v[50:51], v75 offset:6424
	s_waitcnt lgkmcnt(0)
	v_mov_b64_e32 v[26:27], v[0:1]
	v_mov_b64_e32 v[46:47], v[22:23]
	;; [unrolled: 1-line block ×3, first 2 shown]
	v_mov_b32_e32 v54, v43
	v_mov_b32_e32 v58, v51
	;; [unrolled: 1-line block ×3, first 2 shown]
.LBB0_3:
	s_or_b64 exec, exec, s[2:3]
	s_movk_i32 s2, 0x75
	v_mul_lo_u16_sdwa v0, v126, s2 dst_sel:DWORD dst_unused:UNUSED_PAD src0_sel:BYTE_0 src1_sel:DWORD
	v_sub_u16_sdwa v1, v126, v0 dst_sel:DWORD dst_unused:UNUSED_PAD src0_sel:DWORD src1_sel:BYTE_1
	v_lshrrev_b16_e32 v1, 1, v1
	v_and_b32_e32 v1, 0x7f, v1
	v_add_u16_sdwa v0, v1, v0 dst_sel:DWORD dst_unused:UNUSED_PAD src0_sel:DWORD src1_sel:BYTE_1
	v_lshrrev_b16_e32 v62, 3, v0
	v_mul_lo_u16_e32 v0, 11, v62
	v_sub_u16_e32 v92, v126, v0
	v_mov_b32_e32 v0, 6
	v_mul_u32_u24_sdwa v1, v92, v0 dst_sel:DWORD dst_unused:UNUSED_PAD src0_sel:BYTE_0 src1_sel:DWORD
	v_lshlrev_b32_e32 v1, 3, v1
	global_load_dwordx4 v[12:15], v1, s[10:11] offset:32
	global_load_dwordx4 v[20:23], v1, s[10:11] offset:16
	global_load_dwordx4 v[16:19], v1, s[10:11]
	v_add_u16_e32 v1, 0x4d, v126
	v_mul_lo_u16_sdwa v2, v1, s2 dst_sel:DWORD dst_unused:UNUSED_PAD src0_sel:BYTE_0 src1_sel:DWORD
	v_sub_u16_sdwa v3, v1, v2 dst_sel:DWORD dst_unused:UNUSED_PAD src0_sel:DWORD src1_sel:BYTE_1
	v_lshrrev_b16_e32 v3, 1, v3
	v_and_b32_e32 v3, 0x7f, v3
	v_add_u16_sdwa v2, v3, v2 dst_sel:DWORD dst_unused:UNUSED_PAD src0_sel:DWORD src1_sel:BYTE_1
	v_lshrrev_b16_e32 v129, 3, v2
	v_mul_lo_u16_e32 v2, 11, v129
	v_sub_u16_e32 v130, v1, v2
	v_mul_u32_u24_sdwa v0, v130, v0 dst_sel:DWORD dst_unused:UNUSED_PAD src0_sel:BYTE_0 src1_sel:DWORD
	v_lshlrev_b32_e32 v41, 3, v0
	global_load_dwordx4 v[8:11], v41, s[10:11] offset:16
	global_load_dwordx4 v[0:3], v41, s[10:11]
	global_load_dwordx4 v[4:7], v41, s[10:11] offset:32
	s_mov_b32 s20, 0x3d64c772
	s_mov_b32 s21, 0x3f4a47b2
	;; [unrolled: 1-line block ×9, first 2 shown]
	s_waitcnt lgkmcnt(0)
	s_barrier
	v_mov_b32_e32 v53, 0
	s_waitcnt vmcnt(5)
	v_mul_f32_e32 v43, v39, v13
	s_waitcnt vmcnt(4)
	v_mul_f32_e32 v59, v35, v20
	;; [unrolled: 2-line block ×3, first 2 shown]
	v_fma_f32 v60, v38, v12, -v43
	v_mul_f32_e32 v63, v37, v22
	v_mul_f32_e32 v93, v36, v23
	;; [unrolled: 1-line block ×3, first 2 shown]
	s_waitcnt vmcnt(2)
	v_pk_mul_f32 v[90:91], v[24:25], v[8:9] op_sel:[1,0]
	v_mov_b32_e32 v88, v11
	v_mov_b32_e32 v89, v10
	s_waitcnt vmcnt(1)
	v_pk_mul_f32 v[94:95], v[48:49], v[0:1] op_sel:[1,0]
	v_pk_mul_f32 v[96:97], v[46:47], v[2:3] op_sel:[1,0]
	s_waitcnt vmcnt(0)
	v_pk_mul_f32 v[54:55], v[54:55], v[4:5] op_sel_hi:[0,1]
	v_pk_mul_f32 v[98:99], v[58:59], v[6:7] op_sel_hi:[0,1]
	v_pk_fma_f32 v[100:101], v[24:25], v[8:9], v[90:91] op_sel:[0,0,1] op_sel_hi:[0,1,0]
	v_pk_fma_f32 v[24:25], v[24:25], v[8:9], v[90:91] op_sel:[0,0,1] op_sel_hi:[0,1,0] neg_lo:[0,0,1] neg_hi:[0,0,1]
	v_pk_mul_f32 v[56:57], v[56:57], v[88:89] op_sel_hi:[0,1]
	v_pk_fma_f32 v[90:91], v[48:49], v[0:1], v[94:95] op_sel:[0,0,1] op_sel_hi:[0,1,0]
	v_pk_fma_f32 v[48:49], v[48:49], v[0:1], v[94:95] op_sel:[0,0,1] op_sel_hi:[0,1,0] neg_lo:[0,0,1] neg_hi:[0,0,1]
	v_pk_fma_f32 v[94:95], v[46:47], v[2:3], v[96:97] op_sel:[0,0,1] op_sel_hi:[0,1,0]
	v_pk_fma_f32 v[46:47], v[46:47], v[2:3], v[96:97] op_sel:[0,0,1] op_sel_hi:[0,1,0] neg_lo:[0,0,1] neg_hi:[0,0,1]
	;; [unrolled: 2-line block ×4, first 2 shown]
	v_fma_f32 v58, v32, v18, -v41
	v_pk_fma_f32 v[98:99], v[40:41], v[10:11], v[56:57] op_sel_hi:[0,1,1]
	v_pk_fma_f32 v[40:41], v[40:41], v[10:11], v[56:57] op_sel_hi:[0,1,1] neg_lo:[0,0,1] neg_hi:[0,0,1]
	v_mov_b32_e32 v49, v91
	v_mov_b32_e32 v47, v95
	;; [unrolled: 1-line block ×6, first 2 shown]
	v_pk_add_f32 v[54:55], v[48:49], v[50:51]
	v_pk_add_f32 v[48:49], v[48:49], v[50:51] neg_lo:[0,1] neg_hi:[0,1]
	v_pk_add_f32 v[50:51], v[46:47], v[42:43]
	v_pk_add_f32 v[42:43], v[46:47], v[42:43] neg_lo:[0,1] neg_hi:[0,1]
	;; [unrolled: 2-line block ×3, first 2 shown]
	v_pk_add_f32 v[40:41], v[50:51], v[54:55]
	v_pk_add_f32 v[94:95], v[24:25], v[42:43] op_sel:[1,1] op_sel_hi:[0,0]
	v_mov_b32_e32 v96, v46
	v_mov_b32_e32 v97, v41
	;; [unrolled: 1-line block ×3, first 2 shown]
	v_pk_add_f32 v[56:57], v[50:51], v[54:55] neg_lo:[0,1] neg_hi:[0,1]
	v_pk_add_f32 v[90:91], v[42:43], v[48:49] op_sel:[1,1] op_sel_hi:[0,0] neg_lo:[0,1] neg_hi:[0,1]
	v_pk_add_f32 v[50:51], v[46:47], v[50:51] neg_lo:[0,1] neg_hi:[0,1]
	v_pk_add_f32 v[42:43], v[24:25], v[42:43] op_sel:[1,1] op_sel_hi:[0,0] neg_lo:[0,1] neg_hi:[0,1]
	v_pk_add_f32 v[24:25], v[48:49], v[24:25] op_sel:[1,1] op_sel_hi:[0,0] neg_lo:[0,1] neg_hi:[0,1]
	v_pk_add_f32 v[96:97], v[96:97], v[40:41]
	v_pk_add_f32 v[48:49], v[94:95], v[48:49] op_sel:[0,1] op_sel_hi:[1,0]
	v_pk_add_f32 v[54:55], v[54:55], v[46:47] neg_lo:[0,1] neg_hi:[0,1]
	v_pk_mul_f32 v[46:47], v[56:57], s[14:15] op_sel_hi:[1,0]
	v_pk_mul_f32 v[50:51], v[50:51], s[20:21] op_sel_hi:[1,0]
	v_pk_add_f32 v[40:41], v[26:27], v[96:97]
	v_pk_mul_f32 v[26:27], v[48:49], s[2:3] op_sel_hi:[1,0]
	s_mov_b32 s3, 0xbf4a47b2
	v_pk_mul_f32 v[98:99], v[90:91], s[16:17] op_sel_hi:[1,0]
	v_pk_mul_f32 v[94:95], v[42:43], s[22:23] op_sel_hi:[1,0]
	v_fmamk_f32 v101, v54, 0x3f4a47b2, v50
	v_pk_fma_f32 v[42:43], v[56:57], s[14:15], v[50:51] op_sel_hi:[1,0,1] neg_lo:[0,0,1] neg_hi:[0,0,1]
	v_pk_fma_f32 v[56:57], v[96:97], s[18:19], v[40:41] op_sel_hi:[1,0,1] neg_lo:[1,0,0] neg_hi:[1,0,0]
	v_fma_f32 v100, v54, s3, -v46
	v_fma_f32 v50, v55, s3, -v47
	s_mov_b32 s3, 0xbeae86e6
	v_pk_mul_f32 v[96:97], v[30:31], v[16:17] op_sel_hi:[1,0]
	v_fmac_f32_e32 v51, 0x3f4a47b2, v55
	v_pk_fma_f32 v[54:55], v[90:91], s[16:17], v[94:95] op_sel_hi:[1,0,1] neg_lo:[0,0,1] neg_hi:[0,0,1]
	v_fmac_f32_e32 v94, 0x3eae86e6, v24
	v_fma_f32 v46, v25, s3, -v99
	v_fma_f32 v24, v24, s3, -v98
	v_pk_fma_f32 v[98:99], v[30:31], v[16:17], v[96:97] op_sel:[0,1,1] op_sel_hi:[1,1,0]
	v_pk_fma_f32 v[30:31], v[30:31], v[16:17], v[96:97] op_sel:[0,1,1] op_sel_hi:[1,1,0] neg_lo:[1,0,0] neg_hi:[1,0,0]
	v_mov_b32_e32 v96, v33
	v_mov_b32_e32 v97, v36
	;; [unrolled: 1-line block ×5, first 2 shown]
	v_pk_add_f32 v[90:91], v[42:43], v[56:57]
	v_pk_add_f32 v[42:43], v[50:51], v[56:57] op_sel:[0,1]
	v_pk_add_f32 v[50:51], v[100:101], v[56:57] op_sel_hi:[1,0]
	v_mov_b32_e32 v100, v18
	v_mov_b32_e32 v101, v22
	v_pk_mul_f32 v[32:33], v[32:33], v[36:37]
	v_pk_fma_f32 v[54:55], v[48:49], s[2:3], v[54:55] op_sel_hi:[1,0,1]
	v_pk_fma_f32 v[36:37], v[96:97], v[18:19], v[32:33]
	v_pk_fma_f32 v[32:33], v[96:97], v[100:101], v[32:33] neg_lo:[0,0,1] neg_hi:[0,0,1]
	v_mov_b32_e32 v96, v39
	v_mov_b32_e32 v97, v34
	;; [unrolled: 1-line block ×7, first 2 shown]
	v_pk_mul_f32 v[34:35], v[38:39], v[34:35]
	v_fmamk_f32 v47, v25, 0x3eae86e6, v95
	v_mov_b32_e32 v25, v94
	v_pk_add_f32 v[48:49], v[90:91], v[54:55] neg_lo:[0,1] neg_hi:[0,1]
	v_pk_fma_f32 v[38:39], v[96:97], v[12:13], v[34:35]
	v_pk_fma_f32 v[34:35], v[96:97], v[100:101], v[34:35] neg_lo:[0,0,1] neg_hi:[0,0,1]
	v_pk_mul_f32 v[96:97], v[44:45], v[14:15] op_sel_hi:[1,0]
	v_mov_b32_e32 v30, v15
	v_pk_add_f32 v[56:57], v[26:27], v[24:25] op_sel_hi:[0,1]
	v_mov_b32_e32 v25, v49
	v_mul_u32_u24_e32 v49, 0x4d, v62
	v_pk_fma_f32 v[100:101], v[44:45], v[30:31], v[96:97] op_sel:[0,0,1] op_sel_hi:[1,0,0]
	v_pk_fma_f32 v[44:45], v[44:45], v[30:31], v[96:97] op_sel:[0,0,1] op_sel_hi:[1,0,0] neg_lo:[1,0,0] neg_hi:[1,0,0]
	v_add_u32_sdwa v49, v49, v92 dst_sel:DWORD dst_unused:UNUSED_PAD src0_sel:DWORD src1_sel:BYTE_0
	v_mov_b32_e32 v99, v31
	v_mov_b32_e32 v37, v33
	;; [unrolled: 1-line block ×6, first 2 shown]
	v_pk_add_f32 v[94:95], v[58:59], v[60:61]
	v_pk_add_f32 v[96:97], v[98:99], v[100:101]
	v_pk_add_f32 v[98:99], v[98:99], v[100:101] neg_lo:[0,1] neg_hi:[0,1]
	v_pk_add_f32 v[100:101], v[36:37], v[38:39]
	v_pk_add_f32 v[30:31], v[62:63], v[92:93]
	v_pk_add_f32 v[36:37], v[36:37], v[38:39] neg_lo:[0,1] neg_hi:[0,1]
	v_mov_b32_e32 v38, v31
	v_mov_b32_e32 v39, v58
	;; [unrolled: 1-line block ×8, first 2 shown]
	v_pk_add_f32 v[38:39], v[38:39], v[44:45] neg_lo:[0,1] neg_hi:[0,1]
	v_pk_add_f32 v[92:93], v[94:95], v[30:31]
	v_pk_add_f32 v[32:33], v[34:35], v[32:33]
	v_mov_b32_e32 v60, v38
	v_mov_b32_e32 v61, v99
	;; [unrolled: 1-line block ×7, first 2 shown]
	v_pk_add_f32 v[60:61], v[60:61], v[36:37] neg_lo:[0,1] neg_hi:[0,1]
	s_mov_b32 s23, s24
	v_pk_add_f32 v[34:35], v[34:35], v[94:95] neg_lo:[0,1] neg_hi:[0,1]
	v_mov_b32_e32 v31, v93
	v_mov_b32_e32 v102, v32
	;; [unrolled: 1-line block ×3, first 2 shown]
	v_pk_add_f32 v[32:33], v[92:93], v[32:33]
	v_pk_add_f32 v[44:45], v[44:45], v[38:39] neg_lo:[0,1] neg_hi:[0,1]
	v_pk_mul_f32 v[60:61], v[60:61], s[22:23]
	v_pk_add_f32 v[62:63], v[36:37], v[38:39]
	v_pk_add_f32 v[102:103], v[30:31], v[102:103] neg_lo:[0,1] neg_hi:[0,1]
	v_pk_add_f32 v[28:29], v[28:29], v[32:33]
	v_pk_mul_f32 v[34:35], v[34:35], s[20:21]
	s_mov_b32 s22, s21
	s_mov_b32 s23, s20
	v_pk_mul_f32 v[58:59], v[44:45], s[24:25]
	v_pk_add_f32 v[62:63], v[62:63], v[98:99]
	v_pk_mul_f32 v[92:93], v[102:103], s[22:23]
	v_pk_fma_f32 v[32:33], v[32:33], s[18:19], v[28:29] op_sel_hi:[1,0,1] neg_lo:[1,0,0] neg_hi:[1,0,0]
	v_pk_fma_f32 v[102:103], v[102:103], s[22:23], v[34:35]
	v_pk_fma_f32 v[44:45], v[44:45], s[24:25], v[60:61]
	v_pk_add_f32 v[102:103], v[102:103], v[32:33]
	v_pk_fma_f32 v[44:45], v[62:63], s[2:3], v[44:45] op_sel_hi:[1,0,1]
	v_lshl_add_u32 v131, v49, 3, v127
	v_pk_add_f32 v[104:105], v[102:103], v[44:45]
	v_pk_add_f32 v[44:45], v[102:103], v[44:45] neg_lo:[0,1] neg_hi:[0,1]
	v_mov_b32_e32 v102, v104
	v_mov_b32_e32 v103, v45
	v_mov_b32_e32 v37, v39
	v_mov_b32_e32 v95, v100
	v_mov_b32_e32 v31, v96
	ds_write2_b64 v131, v[28:29], v[102:103] offset1:11
	v_pk_add_f32 v[28:29], v[36:37], v[98:99] neg_lo:[0,1] neg_hi:[0,1]
	v_pk_add_f32 v[30:31], v[94:95], v[30:31] neg_lo:[0,1] neg_hi:[0,1]
	v_mov_b32_e32 v36, v92
	v_mov_b32_e32 v37, v35
	;; [unrolled: 1-line block ×6, first 2 shown]
	v_pk_fma_f32 v[36:37], v[30:31], s[14:15], v[36:37] op_sel_hi:[1,0,1] neg_lo:[1,0,1] neg_hi:[1,0,1]
	v_pk_fma_f32 v[38:39], v[28:29], s[16:17], v[38:39] op_sel_hi:[1,0,1] neg_lo:[1,0,1] neg_hi:[1,0,1]
	;; [unrolled: 1-line block ×4, first 2 shown]
	v_pk_add_f32 v[36:37], v[36:37], v[32:33]
	v_pk_fma_f32 v[38:39], v[62:63], s[2:3], v[38:39] op_sel_hi:[1,0,1]
	v_pk_add_f32 v[30:31], v[30:31], v[32:33]
	v_pk_fma_f32 v[28:29], v[62:63], s[2:3], v[28:29] op_sel_hi:[1,0,1]
	v_pk_add_f32 v[46:47], v[26:27], v[46:47] op_sel:[1,0]
	v_pk_add_f32 v[54:55], v[90:91], v[54:55]
	v_pk_add_f32 v[94:95], v[36:37], v[38:39]
	v_pk_add_f32 v[36:37], v[36:37], v[38:39] neg_lo:[0,1] neg_hi:[0,1]
	v_pk_add_f32 v[32:33], v[30:31], v[28:29] neg_lo:[0,1] neg_hi:[0,1]
	v_pk_add_f32 v[28:29], v[30:31], v[28:29]
	v_mov_b32_e32 v24, v54
	v_pk_add_f32 v[26:27], v[50:51], v[56:57] neg_lo:[0,1] neg_hi:[0,1]
	v_pk_add_f32 v[90:91], v[46:47], v[42:43]
	v_mov_b32_e32 v38, v94
	v_mov_b32_e32 v39, v37
	;; [unrolled: 1-line block ×7, first 2 shown]
	ds_write2_b64 v131, v[38:39], v[30:31] offset0:22 offset1:33
	ds_write2_b64 v131, v[28:29], v[36:37] offset0:44 offset1:55
	ds_write_b64 v131, v[44:45] offset:528
	s_and_saveexec_b64 s[2:3], vcc
	s_cbranch_execz .LBB0_5
; %bb.4:
	v_mul_u32_u24_e32 v28, 0x4d, v129
	v_add_u32_sdwa v28, v28, v130 dst_sel:DWORD dst_unused:UNUSED_PAD src0_sel:DWORD src1_sel:BYTE_0
	v_lshl_add_u32 v34, v28, 3, v127
	v_mov_b32_e32 v28, v57
	v_mov_b32_e32 v30, v51
	v_pk_add_f32 v[28:29], v[28:29], v[30:31]
	v_pk_add_f32 v[30:31], v[42:43], v[46:47] neg_lo:[0,1] neg_hi:[0,1]
	v_pk_add_f32 v[32:33], v[56:57], v[50:51]
	v_mov_b32_e32 v29, v31
	ds_write2_b64 v34, v[40:41], v[28:29] offset1:11
	v_mov_b32_e32 v29, v42
	v_mov_b32_e32 v30, v50
	v_mov_b32_e32 v31, v46
	v_pk_add_f32 v[28:29], v[28:29], v[30:31] neg_lo:[0,1] neg_hi:[0,1]
	v_mov_b32_e32 v49, v55
	v_mov_b32_e32 v33, v29
	;; [unrolled: 1-line block ×4, first 2 shown]
	ds_write2_b64 v34, v[24:25], v[28:29] offset0:44 offset1:55
	v_mov_b32_e32 v28, v27
	v_mov_b32_e32 v29, v91
	ds_write2_b64 v34, v[32:33], v[48:49] offset0:22 offset1:33
	ds_write_b64 v34, v[28:29] offset:528
.LBB0_5:
	s_or_b64 exec, exec, s[2:3]
	s_movk_i32 s2, 0x50
	v_mov_b64_e32 v[28:29], s[10:11]
	v_mad_u64_u32 v[48:49], s[2:3], v126, s2, v[28:29]
	s_waitcnt lgkmcnt(0)
	s_barrier
	global_load_dwordx4 v[28:31], v[48:49], off offset:528
	global_load_dwordx4 v[44:47], v[48:49], off offset:544
	;; [unrolled: 1-line block ×5, first 2 shown]
	ds_read2_b64 v[54:57], v75 offset0:154 offset1:231
	ds_read2_b64 v[48:51], v75 offset1:77
	v_add_u32_e32 v106, 0x800, v75
	v_add_u32_e32 v132, 0xc00, v75
	;; [unrolled: 1-line block ×3, first 2 shown]
	ds_read_b64 v[62:63], v75 offset:6160
	ds_read2_b64 v[58:61], v106 offset0:52 offset1:129
	ds_read2_b64 v[92:95], v132 offset0:78 offset1:155
	;; [unrolled: 1-line block ×3, first 2 shown]
	s_mov_b32 s10, 0xbf0a6770
	s_mov_b32 s11, 0x3f575c64
	;; [unrolled: 1-line block ×35, first 2 shown]
	v_lshl_add_u64 v[52:53], s[8:9], 0, v[52:53]
	s_movk_i32 s2, 0x1000
	s_waitcnt vmcnt(4) lgkmcnt(4)
	v_pk_mul_f32 v[102:103], v[50:51], v[28:29] op_sel:[1,0] op_sel_hi:[0,1]
	v_mov_b32_e32 v100, v29
	v_mov_b32_e32 v102, v31
	s_waitcnt vmcnt(3)
	v_pk_mul_f32 v[104:105], v[56:57], v[44:45] op_sel:[0,1]
	v_mov_b32_e32 v108, v47
	s_waitcnt vmcnt(2) lgkmcnt(2)
	v_pk_mul_f32 v[110:111], v[60:61], v[40:41] op_sel:[0,1]
	v_mov_b32_e32 v112, v43
	s_waitcnt vmcnt(1) lgkmcnt(1)
	;; [unrolled: 3-line block ×3, first 2 shown]
	v_pk_mul_f32 v[118:119], v[98:99], v[36:37] op_sel:[0,1]
	v_mov_b32_e32 v120, v39
	v_pk_mul_f32 v[100:101], v[50:51], v[100:101] op_sel:[1,0] op_sel_hi:[0,1]
	v_mov_b32_e32 v122, v103
	v_pk_mul_f32 v[102:103], v[54:55], v[102:103] op_sel_hi:[1,0]
	v_pk_fma_f32 v[124:125], v[56:57], v[44:45], v[104:105] op_sel:[0,0,1] op_sel_hi:[1,1,0] neg_lo:[0,0,1] neg_hi:[0,0,1]
	v_pk_fma_f32 v[56:57], v[56:57], v[44:45], v[104:105] op_sel:[0,0,1] op_sel_hi:[1,0,0]
	v_pk_mul_f32 v[104:105], v[58:59], v[108:109] op_sel_hi:[1,0]
	v_pk_fma_f32 v[108:109], v[60:61], v[40:41], v[110:111] op_sel:[0,0,1] op_sel_hi:[1,1,0] neg_lo:[0,0,1] neg_hi:[0,0,1]
	v_pk_fma_f32 v[60:61], v[60:61], v[40:41], v[110:111] op_sel:[0,0,1] op_sel_hi:[1,0,0]
	;; [unrolled: 3-line block ×4, first 2 shown]
	v_pk_mul_f32 v[118:119], v[62:63], v[120:121] op_sel_hi:[1,0]
	v_pk_fma_f32 v[100:101], v[50:51], v[28:29], v[100:101] neg_lo:[0,0,1] neg_hi:[0,0,1]
	v_pk_fma_f32 v[120:121], v[50:51], v[28:29], v[122:123] op_sel:[1,0,0] op_sel_hi:[0,1,1]
	v_pk_fma_f32 v[122:123], v[54:55], v[30:31], v[102:103] op_sel:[0,0,1] op_sel_hi:[1,1,0] neg_lo:[0,0,1] neg_hi:[0,0,1]
	v_pk_fma_f32 v[50:51], v[54:55], v[30:31], v[102:103] op_sel:[0,0,1] op_sel_hi:[1,0,0]
	v_mov_b32_e32 v125, v57
	v_pk_fma_f32 v[54:55], v[58:59], v[46:47], v[104:105] op_sel:[0,0,1] op_sel_hi:[1,1,0] neg_lo:[0,0,1] neg_hi:[0,0,1]
	v_pk_fma_f32 v[56:57], v[58:59], v[46:47], v[104:105] op_sel:[0,0,1] op_sel_hi:[1,0,0]
	v_mov_b32_e32 v109, v61
	;; [unrolled: 3-line block ×3, first 2 shown]
	v_pk_fma_f32 v[92:93], v[96:97], v[34:35], v[114:115] op_sel:[0,0,1] op_sel_hi:[1,1,0] neg_lo:[0,0,1] neg_hi:[0,0,1]
	v_pk_fma_f32 v[94:95], v[96:97], v[34:35], v[114:115] op_sel:[0,0,1] op_sel_hi:[1,0,0]
	v_pk_fma_f32 v[96:97], v[62:63], v[38:39], v[118:119] op_sel:[0,0,1] op_sel_hi:[1,0,0] neg_lo:[0,0,1] neg_hi:[0,0,1]
	v_pk_fma_f32 v[62:63], v[62:63], v[38:39], v[118:119] op_sel:[0,0,1] op_sel_hi:[1,0,0]
	v_mov_b32_e32 v123, v51
	v_mov_b32_e32 v50, v100
	;; [unrolled: 1-line block ×6, first 2 shown]
	v_pk_add_f32 v[110:111], v[100:101], v[96:97]
	v_mov_b32_e32 v61, v120
	v_pk_add_f32 v[94:95], v[100:101], v[96:97] neg_lo:[0,1] neg_hi:[0,1]
	v_mov_b32_e32 v60, v63
	v_pk_add_f32 v[96:97], v[48:49], v[50:51]
	v_mov_b32_e32 v55, v57
	v_mov_b32_e32 v57, v63
	v_pk_add_f32 v[50:51], v[60:61], v[62:63]
	v_pk_add_f32 v[62:63], v[96:97], v[122:123]
	;; [unrolled: 1-line block ×4, first 2 shown]
	v_pk_add_f32 v[100:101], v[54:55], v[112:113] neg_lo:[0,1] neg_hi:[0,1]
	v_pk_add_f32 v[54:55], v[62:63], v[54:55]
	v_mov_b32_e32 v117, v99
	v_pk_add_f32 v[54:55], v[54:55], v[108:109]
	v_pk_add_f32 v[114:115], v[120:121], v[60:61] neg_lo:[0,1] neg_hi:[0,1]
	v_pk_add_f32 v[54:55], v[54:55], v[58:59]
	v_mov_b32_e32 v111, v94
	v_pk_add_f32 v[54:55], v[54:55], v[112:113]
	v_pk_add_f32 v[136:137], v[108:109], v[58:59]
	;; [unrolled: 1-line block ×3, first 2 shown]
	v_pk_add_f32 v[138:139], v[108:109], v[58:59] neg_lo:[0,1] neg_hi:[0,1]
	v_pk_add_f32 v[54:55], v[54:55], v[116:117]
	v_mov_b32_e32 v50, v114
	v_pk_add_f32 v[108:109], v[54:55], v[56:57]
	v_pk_mul_f32 v[56:57], v[110:111], s[22:23]
	v_pk_add_f32 v[118:119], v[122:123], v[116:117]
	v_pk_fma_f32 v[58:59], v[114:115], s[10:11], v[56:57] neg_lo:[1,0,0] neg_hi:[1,0,0]
	v_pk_fma_f32 v[54:55], v[50:51], s[10:11], v[56:57]
	v_pk_add_f32 v[60:61], v[122:123], v[116:117] neg_lo:[0,1] neg_hi:[0,1]
	v_mov_b32_e32 v59, v55
	v_pk_add_f32 v[120:121], v[124:125], v[92:93]
	v_pk_add_f32 v[98:99], v[124:125], v[92:93] neg_lo:[0,1] neg_hi:[0,1]
	v_pk_add_f32 v[92:93], v[48:49], v[58:59]
	v_mov_b32_e32 v59, v119
	v_mov_b32_e32 v119, v60
	;; [unrolled: 1-line block ×3, first 2 shown]
	v_pk_mul_f32 v[62:63], v[118:119], s[44:45]
	v_pk_mul_f32 v[160:161], v[118:119], s[40:41]
	v_pk_fma_f32 v[94:95], v[58:59], s[20:21], v[62:63] neg_lo:[1,0,0] neg_hi:[1,0,0]
	v_pk_fma_f32 v[60:61], v[58:59], s[20:21], v[62:63]
	v_pk_fma_f32 v[162:163], v[58:59], s[26:27], v[160:161] neg_lo:[1,0,0] neg_hi:[1,0,0]
	v_mov_b32_e32 v95, v61
	v_pk_add_f32 v[102:103], v[94:95], v[92:93]
	v_mov_b32_e32 v93, v121
	v_mov_b32_e32 v121, v98
	v_mov_b32_e32 v92, v99
	v_pk_mul_f32 v[96:97], v[120:121], s[34:35]
	v_pk_fma_f32 v[164:165], v[58:59], s[26:27], v[160:161]
	v_pk_fma_f32 v[98:99], v[92:93], s[18:19], v[96:97] neg_lo:[1,0,0] neg_hi:[1,0,0]
	v_pk_fma_f32 v[94:95], v[92:93], s[18:19], v[96:97]
	v_mov_b32_e32 v163, v165
	v_mov_b32_e32 v99, v95
	v_pk_add_f32 v[104:105], v[98:99], v[102:103]
	v_mov_b32_e32 v99, v135
	v_mov_b32_e32 v135, v100
	;; [unrolled: 1-line block ×3, first 2 shown]
	v_pk_mul_f32 v[102:103], v[134:135], s[28:29]
	v_pk_mul_f32 v[178:179], v[118:119], s[48:49]
	v_pk_fma_f32 v[112:113], v[98:99], s[14:15], v[102:103] neg_lo:[1,0,0] neg_hi:[1,0,0]
	v_pk_fma_f32 v[100:101], v[98:99], s[14:15], v[102:103]
	v_pk_fma_f32 v[180:181], v[58:59], s[24:25], v[178:179] neg_lo:[1,0,0] neg_hi:[1,0,0]
	v_mov_b32_e32 v113, v101
	v_pk_add_f32 v[112:113], v[112:113], v[104:105]
	v_mov_b32_e32 v105, v137
	v_mov_b32_e32 v137, v138
	;; [unrolled: 1-line block ×3, first 2 shown]
	v_pk_mul_f32 v[116:117], v[136:137], s[38:39]
	v_pk_mul_f32 v[138:139], v[118:119], s[28:29]
	v_pk_fma_f32 v[122:123], v[104:105], s[16:17], v[116:117] neg_lo:[1,0,0] neg_hi:[1,0,0]
	v_pk_fma_f32 v[124:125], v[104:105], s[16:17], v[116:117]
	v_pk_fma_f32 v[140:141], v[58:59], s[14:15], v[138:139] neg_lo:[1,0,0] neg_hi:[1,0,0]
	v_mov_b32_e32 v123, v125
	v_pk_add_f32 v[112:113], v[122:123], v[112:113]
	ds_write2_b64 v75, v[108:109], v[112:113] offset1:77
	v_pk_mul_f32 v[108:109], v[110:111], s[44:45]
	v_pk_fma_f32 v[142:143], v[58:59], s[14:15], v[138:139]
	v_pk_fma_f32 v[112:113], v[114:115], s[20:21], v[108:109] neg_lo:[1,0,0] neg_hi:[1,0,0]
	v_pk_fma_f32 v[122:123], v[50:51], s[20:21], v[108:109]
	v_mov_b32_e32 v141, v143
	v_mov_b32_e32 v113, v123
	v_pk_add_f32 v[112:113], v[48:49], v[112:113]
	v_pk_fma_f32 v[182:183], v[58:59], s[24:25], v[178:179]
	v_pk_add_f32 v[112:113], v[140:141], v[112:113]
	v_pk_mul_f32 v[140:141], v[120:121], s[40:41]
	v_mov_b32_e32 v181, v183
	v_pk_fma_f32 v[144:145], v[92:93], s[26:27], v[140:141] neg_lo:[1,0,0] neg_hi:[1,0,0]
	v_pk_fma_f32 v[146:147], v[92:93], s[26:27], v[140:141]
	v_pk_mul_f32 v[118:119], v[118:119], s[46:47]
	v_mov_b32_e32 v145, v147
	v_pk_add_f32 v[112:113], v[144:145], v[112:113]
	v_pk_mul_f32 v[144:145], v[134:135], s[48:49]
	v_pk_fma_f32 v[196:197], v[58:59], s[36:37], v[118:119] neg_lo:[1,0,0] neg_hi:[1,0,0]
	v_pk_fma_f32 v[148:149], v[98:99], s[24:25], v[144:145] neg_lo:[1,0,0] neg_hi:[1,0,0]
	v_pk_fma_f32 v[150:151], v[98:99], s[24:25], v[144:145]
	v_pk_fma_f32 v[198:199], v[58:59], s[36:37], v[118:119]
	v_mov_b32_e32 v149, v151
	v_pk_add_f32 v[112:113], v[148:149], v[112:113]
	v_pk_mul_f32 v[148:149], v[136:137], s[46:47]
	v_mov_b32_e32 v197, v199
	v_pk_fma_f32 v[152:153], v[104:105], s[36:37], v[148:149] neg_lo:[1,0,0] neg_hi:[1,0,0]
	v_pk_fma_f32 v[154:155], v[104:105], s[36:37], v[148:149]
	v_pk_fma_f32 v[108:109], v[50:51], s[20:21], v[108:109] neg_lo:[0,0,1] neg_hi:[0,0,1]
	v_mov_b32_e32 v153, v155
	v_pk_add_f32 v[112:113], v[152:153], v[112:113]
	v_pk_mul_f32 v[152:153], v[110:111], s[34:35]
	v_mov_b32_e32 v123, v109
	v_pk_fma_f32 v[156:157], v[114:115], s[18:19], v[152:153] neg_lo:[1,0,0] neg_hi:[1,0,0]
	v_pk_fma_f32 v[158:159], v[50:51], s[18:19], v[152:153]
	v_pk_add_f32 v[108:109], v[48:49], v[122:123]
	v_mov_b32_e32 v157, v159
	v_pk_add_f32 v[156:157], v[48:49], v[156:157]
	s_nop 0
	v_pk_add_f32 v[156:157], v[162:163], v[156:157]
	v_pk_mul_f32 v[162:163], v[120:121], s[42:43]
	s_nop 0
	v_pk_fma_f32 v[166:167], v[92:93], s[30:31], v[162:163] neg_lo:[1,0,0] neg_hi:[1,0,0]
	v_pk_fma_f32 v[168:169], v[92:93], s[30:31], v[162:163]
	s_nop 0
	v_mov_b32_e32 v167, v169
	v_pk_add_f32 v[156:157], v[166:167], v[156:157]
	v_pk_mul_f32 v[166:167], v[134:135], s[22:23]
	s_nop 0
	v_pk_fma_f32 v[170:171], v[98:99], s[10:11], v[166:167] neg_lo:[1,0,0] neg_hi:[1,0,0]
	v_pk_fma_f32 v[172:173], v[98:99], s[10:11], v[166:167]
	s_nop 0
	v_mov_b32_e32 v171, v173
	;; [unrolled: 7-line block ×3, first 2 shown]
	v_pk_add_f32 v[156:157], v[174:175], v[156:157]
	ds_write2_b64 v75, v[112:113], v[156:157] offset0:154 offset1:231
	v_pk_mul_f32 v[112:113], v[110:111], s[28:29]
	v_pk_mul_f32 v[110:111], v[110:111], s[38:39]
	v_pk_fma_f32 v[156:157], v[114:115], s[14:15], v[112:113] neg_lo:[1,0,0] neg_hi:[1,0,0]
	v_pk_fma_f32 v[174:175], v[50:51], s[14:15], v[112:113]
	v_pk_fma_f32 v[114:115], v[114:115], s[16:17], v[110:111] neg_lo:[1,0,0] neg_hi:[1,0,0]
	v_mov_b32_e32 v157, v175
	v_pk_add_f32 v[156:157], v[48:49], v[156:157]
	v_pk_fma_f32 v[112:113], v[50:51], s[14:15], v[112:113] neg_lo:[0,0,1] neg_hi:[0,0,1]
	v_pk_add_f32 v[156:157], v[180:181], v[156:157]
	v_pk_mul_f32 v[180:181], v[120:121], s[22:23]
	v_pk_mul_f32 v[120:121], v[120:121], s[28:29]
	v_pk_fma_f32 v[184:185], v[92:93], s[10:11], v[180:181] neg_lo:[1,0,0] neg_hi:[1,0,0]
	v_pk_fma_f32 v[186:187], v[92:93], s[10:11], v[180:181]
	v_pk_fma_f32 v[200:201], v[92:93], s[14:15], v[120:121]
	v_mov_b32_e32 v185, v187
	v_pk_add_f32 v[156:157], v[184:185], v[156:157]
	v_pk_mul_f32 v[184:185], v[134:135], s[38:39]
	v_pk_mul_f32 v[134:135], v[134:135], s[42:43]
	v_pk_fma_f32 v[188:189], v[98:99], s[16:17], v[184:185] neg_lo:[1,0,0] neg_hi:[1,0,0]
	v_pk_fma_f32 v[190:191], v[98:99], s[16:17], v[184:185]
	v_pk_fma_f32 v[202:203], v[98:99], s[30:31], v[134:135]
	v_mov_b32_e32 v189, v191
	;; [unrolled: 7-line block ×3, first 2 shown]
	v_pk_add_f32 v[156:157], v[192:193], v[156:157]
	v_pk_fma_f32 v[192:193], v[50:51], s[16:17], v[110:111]
	v_pk_fma_f32 v[110:111], v[50:51], s[16:17], v[110:111] neg_lo:[0,0,1] neg_hi:[0,0,1]
	v_mov_b32_e32 v115, v193
	v_pk_add_f32 v[114:115], v[48:49], v[114:115]
	v_mov_b32_e32 v193, v111
	v_pk_add_f32 v[114:115], v[196:197], v[114:115]
	v_pk_fma_f32 v[196:197], v[92:93], s[14:15], v[120:121] neg_lo:[1,0,0] neg_hi:[1,0,0]
	v_pk_fma_f32 v[110:111], v[58:59], s[36:37], v[118:119] neg_lo:[0,0,1] neg_hi:[0,0,1]
	v_mov_b32_e32 v197, v201
	v_pk_add_f32 v[114:115], v[196:197], v[114:115]
	v_pk_fma_f32 v[196:197], v[98:99], s[30:31], v[134:135] neg_lo:[1,0,0] neg_hi:[1,0,0]
	v_mov_b32_e32 v175, v113
	v_mov_b32_e32 v197, v203
	v_pk_add_f32 v[114:115], v[196:197], v[114:115]
	v_pk_fma_f32 v[196:197], v[104:105], s[18:19], v[136:137] neg_lo:[1,0,0] neg_hi:[1,0,0]
	v_mov_b32_e32 v199, v111
	v_mov_b32_e32 v197, v205
	v_pk_add_f32 v[114:115], v[196:197], v[114:115]
	ds_write2_b64 v106, v[156:157], v[114:115] offset0:52 offset1:129
	v_pk_fma_f32 v[114:115], v[92:93], s[14:15], v[120:121] neg_lo:[0,0,1] neg_hi:[0,0,1]
	v_pk_add_f32 v[110:111], v[48:49], v[192:193]
	v_mov_b32_e32 v201, v115
	v_pk_fma_f32 v[114:115], v[98:99], s[30:31], v[134:135] neg_lo:[0,0,1] neg_hi:[0,0,1]
	v_pk_add_f32 v[112:113], v[48:49], v[174:175]
	v_mov_b32_e32 v203, v115
	;; [unrolled: 3-line block ×6, first 2 shown]
	v_pk_fma_f32 v[114:115], v[104:105], s[30:31], v[188:189] neg_lo:[0,0,1] neg_hi:[0,0,1]
	v_pk_add_f32 v[110:111], v[202:203], v[110:111]
	v_pk_add_f32 v[112:113], v[190:191], v[112:113]
	v_mov_b32_e32 v195, v115
	v_pk_add_f32 v[110:111], v[204:205], v[110:111]
	v_pk_add_f32 v[112:113], v[194:195], v[112:113]
	ds_write2_b64 v132, v[110:111], v[112:113] offset0:78 offset1:155
	v_pk_fma_f32 v[112:113], v[58:59], s[26:27], v[160:161] neg_lo:[0,0,1] neg_hi:[0,0,1]
	v_pk_fma_f32 v[110:111], v[50:51], s[18:19], v[152:153] neg_lo:[0,0,1] neg_hi:[0,0,1]
	v_mov_b32_e32 v165, v113
	v_pk_fma_f32 v[112:113], v[92:93], s[30:31], v[162:163] neg_lo:[0,0,1] neg_hi:[0,0,1]
	v_pk_fma_f32 v[50:51], v[50:51], s[10:11], v[56:57] neg_lo:[0,0,1] neg_hi:[0,0,1]
	v_mov_b32_e32 v159, v111
	v_mov_b32_e32 v169, v113
	v_pk_fma_f32 v[112:113], v[98:99], s[10:11], v[166:167] neg_lo:[0,0,1] neg_hi:[0,0,1]
	v_mov_b32_e32 v55, v51
	v_pk_fma_f32 v[50:51], v[58:59], s[20:21], v[62:63] neg_lo:[0,0,1] neg_hi:[0,0,1]
	v_pk_add_f32 v[110:111], v[48:49], v[158:159]
	v_mov_b32_e32 v173, v113
	v_pk_fma_f32 v[112:113], v[104:105], s[14:15], v[170:171] neg_lo:[0,0,1] neg_hi:[0,0,1]
	v_pk_add_f32 v[48:49], v[48:49], v[54:55]
	v_mov_b32_e32 v61, v51
	v_pk_fma_f32 v[50:51], v[92:93], s[18:19], v[96:97] neg_lo:[0,0,1] neg_hi:[0,0,1]
	v_mov_b32_e32 v177, v113
	v_pk_fma_f32 v[112:113], v[58:59], s[14:15], v[138:139] neg_lo:[0,0,1] neg_hi:[0,0,1]
	v_pk_add_f32 v[48:49], v[60:61], v[48:49]
	v_mov_b32_e32 v95, v51
	v_pk_fma_f32 v[50:51], v[98:99], s[14:15], v[102:103] neg_lo:[0,0,1] neg_hi:[0,0,1]
	;; [unrolled: 5-line block ×3, first 2 shown]
	v_pk_add_f32 v[110:111], v[164:165], v[110:111]
	v_pk_add_f32 v[108:109], v[142:143], v[108:109]
	v_mov_b32_e32 v147, v113
	v_pk_fma_f32 v[112:113], v[98:99], s[24:25], v[144:145] neg_lo:[0,0,1] neg_hi:[0,0,1]
	v_pk_add_f32 v[48:49], v[100:101], v[48:49]
	v_mov_b32_e32 v125, v51
	v_pk_add_f32 v[110:111], v[168:169], v[110:111]
	v_pk_add_f32 v[108:109], v[146:147], v[108:109]
	v_mov_b32_e32 v151, v113
	v_pk_fma_f32 v[112:113], v[104:105], s[36:37], v[148:149] neg_lo:[0,0,1] neg_hi:[0,0,1]
	v_pk_add_f32 v[48:49], v[124:125], v[48:49]
	v_pk_add_f32 v[110:111], v[172:173], v[110:111]
	;; [unrolled: 1-line block ×3, first 2 shown]
	v_mov_b32_e32 v155, v113
	ds_write_b64 v75, v[48:49] offset:6160
	v_add_co_u32_e64 v48, s[2:3], s2, v52
	v_pk_add_f32 v[110:111], v[176:177], v[110:111]
	v_pk_add_f32 v[108:109], v[154:155], v[108:109]
	v_addc_co_u32_e64 v49, s[2:3], 0, v53, s[2:3]
	ds_write2_b64 v107, v[110:111], v[108:109] offset0:104 offset1:181
	s_waitcnt lgkmcnt(0)
	s_barrier
	global_load_dwordx2 v[54:55], v[48:49], off offset:2680
	s_mov_b64 s[2:3], 0x1a78
	v_lshl_add_u64 v[48:49], v[52:53], 0, s[2:3]
	global_load_dwordx2 v[56:57], v[48:49], off offset:616
	global_load_dwordx2 v[58:59], v[48:49], off offset:1232
	;; [unrolled: 1-line block ×5, first 2 shown]
	s_movk_i32 s2, 0x2000
	v_add_co_u32_e64 v50, s[2:3], s2, v52
	s_nop 1
	v_addc_co_u32_e64 v51, s[2:3], 0, v53, s[2:3]
	global_load_dwordx2 v[94:95], v[50:51], off offset:2896
	global_load_dwordx2 v[96:97], v[48:49], off offset:3696
	;; [unrolled: 1-line block ×3, first 2 shown]
	s_movk_i32 s2, 0x3000
	v_add_co_u32_e64 v48, s[2:3], s2, v52
	s_nop 1
	v_addc_co_u32_e64 v49, s[2:3], 0, v53, s[2:3]
	global_load_dwordx2 v[100:101], v[48:49], off offset:32
	global_load_dwordx2 v[102:103], v[48:49], off offset:648
	ds_read2_b64 v[48:51], v75 offset1:77
	s_mov_b32 s2, s17
	s_waitcnt vmcnt(10) lgkmcnt(0)
	v_mul_f32_e32 v52, v49, v55
	v_mul_f32_e32 v105, v48, v55
	v_fma_f32 v104, v48, v54, -v52
	v_fmac_f32_e32 v105, v49, v54
	ds_read2_b64 v[52:55], v75 offset0:154 offset1:231
	s_waitcnt vmcnt(9)
	v_mul_f32_e32 v48, v51, v57
	v_mul_f32_e32 v49, v50, v57
	v_fma_f32 v48, v50, v56, -v48
	v_fmac_f32_e32 v49, v51, v56
	ds_write2_b64 v75, v[104:105], v[48:49] offset1:77
	s_waitcnt vmcnt(8) lgkmcnt(1)
	v_mul_f32_e32 v48, v53, v59
	v_fma_f32 v56, v52, v58, -v48
	ds_read2_b64 v[48:51], v106 offset0:52 offset1:129
	v_mul_f32_e32 v57, v52, v59
	v_fmac_f32_e32 v57, v53, v58
	s_waitcnt vmcnt(7)
	v_mul_f32_e32 v52, v55, v61
	v_mul_f32_e32 v53, v54, v61
	v_fma_f32 v52, v54, v60, -v52
	v_fmac_f32_e32 v53, v55, v60
	ds_write2_b64 v75, v[56:57], v[52:53] offset0:154 offset1:231
	s_waitcnt vmcnt(6) lgkmcnt(1)
	v_mul_f32_e32 v52, v49, v63
	v_fma_f32 v56, v48, v62, -v52
	ds_read2_b64 v[52:55], v132 offset0:78 offset1:155
	v_mul_f32_e32 v57, v48, v63
	v_fmac_f32_e32 v57, v49, v62
	s_waitcnt vmcnt(5)
	v_mul_f32_e32 v48, v51, v93
	v_mul_f32_e32 v49, v50, v93
	v_fma_f32 v48, v50, v92, -v48
	v_fmac_f32_e32 v49, v51, v92
	ds_write2_b64 v106, v[56:57], v[48:49] offset0:52 offset1:129
	s_waitcnt vmcnt(3) lgkmcnt(1)
	v_mul_f32_e32 v48, v53, v97
	v_fma_f32 v56, v52, v96, -v48
	ds_read2_b64 v[48:51], v107 offset0:104 offset1:181
	v_mul_f32_e32 v57, v52, v97
	v_fmac_f32_e32 v57, v53, v96
	v_mul_f32_e32 v52, v55, v95
	v_mul_f32_e32 v53, v54, v95
	v_fma_f32 v52, v54, v94, -v52
	v_fmac_f32_e32 v53, v55, v94
	ds_write2_b64 v132, v[56:57], v[52:53] offset0:78 offset1:155
	s_waitcnt vmcnt(2) lgkmcnt(1)
	v_mul_f32_e32 v52, v49, v99
	v_mul_f32_e32 v53, v48, v99
	v_fma_f32 v52, v48, v98, -v52
	v_fmac_f32_e32 v53, v49, v98
	ds_read_b64 v[48:49], v75 offset:6160
	s_waitcnt vmcnt(1)
	v_mul_f32_e32 v54, v51, v101
	v_mul_f32_e32 v55, v50, v101
	v_fma_f32 v54, v50, v100, -v54
	v_fmac_f32_e32 v55, v51, v100
	s_waitcnt vmcnt(0) lgkmcnt(0)
	v_mul_f32_e32 v50, v49, v103
	v_mul_f32_e32 v51, v48, v103
	v_fma_f32 v50, v48, v102, -v50
	v_fmac_f32_e32 v51, v49, v102
	ds_write2_b64 v107, v[52:53], v[54:55] offset0:104 offset1:181
	ds_write_b64 v75, v[50:51] offset:6160
	s_waitcnt lgkmcnt(0)
	s_barrier
	ds_read2_b64 v[48:51], v75 offset1:77
	ds_read2_b64 v[58:61], v75 offset0:154 offset1:231
	ds_read2_b64 v[92:95], v106 offset0:52 offset1:129
	;; [unrolled: 1-line block ×4, first 2 shown]
	ds_read_b64 v[52:53], v75 offset:6160
	s_waitcnt lgkmcnt(5)
	v_pk_add_f32 v[54:55], v[48:49], v[50:51]
	s_waitcnt lgkmcnt(0)
	v_pk_add_f32 v[54:55], v[54:55], v[58:59]
	v_pk_add_f32 v[110:111], v[58:59], v[102:103] neg_lo:[0,1] neg_hi:[0,1]
	v_pk_add_f32 v[54:55], v[54:55], v[60:61]
	v_pk_add_f32 v[136:137], v[52:53], v[50:51]
	v_pk_add_f32 v[54:55], v[54:55], v[92:93]
	v_pk_add_f32 v[50:51], v[50:51], v[52:53] neg_lo:[0,1] neg_hi:[0,1]
	v_pk_add_f32 v[54:55], v[54:55], v[94:95]
	v_pk_add_f32 v[138:139], v[102:103], v[58:59]
	;; [unrolled: 1-line block ×3, first 2 shown]
	v_pk_mul_f32 v[56:57], v[110:111], s[36:37] op_sel_hi:[1,0]
	v_pk_add_f32 v[54:55], v[54:55], v[98:99]
	v_pk_add_f32 v[116:117], v[60:61], v[100:101] neg_lo:[0,1] neg_hi:[0,1]
	v_pk_add_f32 v[54:55], v[54:55], v[100:101]
	v_pk_add_f32 v[140:141], v[100:101], v[60:61]
	;; [unrolled: 1-line block ×3, first 2 shown]
	v_mov_b32_e32 v103, v137
	v_pk_add_f32 v[134:135], v[54:55], v[52:53]
	v_pk_mul_f32 v[52:53], v[50:51], s[16:17] op_sel_hi:[1,0]
	v_pk_mul_f32 v[60:61], v[116:117], s[14:15] op_sel_hi:[1,0]
	v_pk_fma_f32 v[54:55], v[136:137], s[2:3], v[52:53] op_sel:[0,0,1] op_sel_hi:[1,0,0]
	v_pk_fma_f32 v[52:53], v[136:137], s[2:3], v[52:53] op_sel:[0,0,1] op_sel_hi:[1,0,0] neg_lo:[0,0,1] neg_hi:[0,0,1]
	v_mov_b32_e32 v108, v54
	v_mov_b32_e32 v109, v53
	s_mov_b32 s2, s11
	v_mov_b32_e32 v137, v50
	v_pk_fma_f32 v[58:59], v[138:139], s[2:3], v[56:57] op_sel:[0,0,1] op_sel_hi:[1,0,0]
	v_pk_fma_f32 v[56:57], v[138:139], s[2:3], v[56:57] op_sel:[0,0,1] op_sel_hi:[1,0,0] neg_lo:[0,0,1] neg_hi:[0,0,1]
	s_mov_b32 s2, s15
	v_pk_add_f32 v[146:147], v[96:97], v[94:95]
	v_pk_add_f32 v[148:149], v[94:95], v[96:97] neg_lo:[0,1] neg_hi:[0,1]
	v_mov_b32_e32 v102, v51
	v_pk_mul_f32 v[106:107], v[136:137], s[28:29]
	v_pk_add_f32 v[94:95], v[48:49], v[108:109]
	v_mov_b32_e32 v109, v139
	v_mov_b32_e32 v139, v110
	;; [unrolled: 1-line block ×4, first 2 shown]
	v_pk_fma_f32 v[62:63], v[140:141], s[2:3], v[60:61] op_sel:[0,0,1] op_sel_hi:[1,0,0]
	v_pk_fma_f32 v[60:61], v[140:141], s[2:3], v[60:61] op_sel:[0,0,1] op_sel_hi:[1,0,0] neg_lo:[0,0,1] neg_hi:[0,0,1]
	v_pk_add_f32 v[142:143], v[98:99], v[92:93]
	v_pk_add_f32 v[92:93], v[92:93], v[98:99] neg_lo:[0,1] neg_hi:[0,1]
	v_pk_fma_f32 v[50:51], v[102:103], s[14:15], v[106:107] neg_lo:[1,0,0] neg_hi:[1,0,0]
	v_pk_fma_f32 v[104:105], v[102:103], s[14:15], v[106:107]
	v_mov_b32_e32 v108, v111
	v_pk_mul_f32 v[112:113], v[138:139], s[48:49]
	v_mov_b32_e32 v120, v62
	v_mov_b32_e32 v121, v61
	s_mov_b32 s2, s21
	v_pk_mul_f32 v[98:99], v[92:93], s[30:31] op_sel_hi:[1,0]
	v_mov_b32_e32 v51, v105
	v_pk_fma_f32 v[96:97], v[108:109], s[24:25], v[112:113] neg_lo:[1,0,0] neg_hi:[1,0,0]
	v_pk_fma_f32 v[110:111], v[108:109], s[24:25], v[112:113]
	v_pk_add_f32 v[94:95], v[114:115], v[94:95]
	v_mov_b32_e32 v115, v141
	v_mov_b32_e32 v141, v116
	v_pk_fma_f32 v[100:101], v[142:143], s[2:3], v[98:99] op_sel:[0,0,1] op_sel_hi:[1,0,0]
	v_pk_fma_f32 v[98:99], v[142:143], s[2:3], v[98:99] op_sel:[0,0,1] op_sel_hi:[1,0,0] neg_lo:[0,0,1] neg_hi:[0,0,1]
	v_pk_add_f32 v[50:51], v[48:49], v[50:51]
	v_mov_b32_e32 v97, v111
	v_mov_b32_e32 v114, v117
	v_pk_mul_f32 v[118:119], v[140:141], s[22:23]
	v_pk_add_f32 v[94:95], v[120:121], v[94:95]
	v_mov_b32_e32 v121, v143
	v_mov_b32_e32 v143, v92
	v_pk_add_f32 v[50:51], v[96:97], v[50:51]
	v_pk_fma_f32 v[96:97], v[114:115], s[10:11], v[118:119] neg_lo:[1,0,0] neg_hi:[1,0,0]
	v_pk_fma_f32 v[116:117], v[114:115], s[10:11], v[118:119]
	v_mov_b32_e32 v120, v93
	v_pk_mul_f32 v[124:125], v[142:143], s[38:39]
	v_mov_b32_e32 v144, v100
	v_mov_b32_e32 v145, v99
	;; [unrolled: 1-line block ×3, first 2 shown]
	v_pk_fma_f32 v[92:93], v[120:121], s[16:17], v[124:125] neg_lo:[1,0,0] neg_hi:[1,0,0]
	v_pk_fma_f32 v[122:123], v[120:121], s[16:17], v[124:125]
	v_pk_add_f32 v[50:51], v[96:97], v[50:51]
	v_mov_b32_e32 v93, v123
	v_pk_add_f32 v[144:145], v[144:145], v[94:95]
	v_pk_mul_f32 v[94:95], v[136:137], s[22:23]
	v_pk_add_f32 v[50:51], v[92:93], v[50:51]
	v_pk_fma_f32 v[96:97], v[102:103], s[10:11], v[94:95]
	v_pk_fma_f32 v[92:93], v[102:103], s[10:11], v[94:95] neg_lo:[1,0,0] neg_hi:[1,0,0]
	v_pk_mul_f32 v[150:151], v[138:139], s[44:45]
	v_mov_b32_e32 v93, v97
	v_pk_fma_f32 v[152:153], v[108:109], s[20:21], v[150:151]
	v_pk_fma_f32 v[154:155], v[108:109], s[20:21], v[150:151] neg_lo:[1,0,0] neg_hi:[1,0,0]
	v_pk_mul_f32 v[156:157], v[140:141], s[34:35]
	v_mov_b32_e32 v155, v153
	v_pk_fma_f32 v[158:159], v[114:115], s[18:19], v[156:157]
	v_pk_fma_f32 v[160:161], v[114:115], s[18:19], v[156:157] neg_lo:[1,0,0] neg_hi:[1,0,0]
	v_pk_mul_f32 v[162:163], v[142:143], s[28:29]
	v_pk_add_f32 v[92:93], v[48:49], v[92:93]
	v_mov_b32_e32 v161, v159
	v_pk_fma_f32 v[164:165], v[120:121], s[14:15], v[162:163]
	v_pk_fma_f32 v[166:167], v[120:121], s[14:15], v[162:163] neg_lo:[1,0,0] neg_hi:[1,0,0]
	v_pk_add_f32 v[92:93], v[154:155], v[92:93]
	v_mov_b32_e32 v167, v165
	v_pk_add_f32 v[92:93], v[160:161], v[92:93]
	v_pk_mul_f32 v[160:161], v[136:137], s[44:45]
	v_pk_add_f32 v[154:155], v[166:167], v[92:93]
	v_pk_fma_f32 v[92:93], v[102:103], s[20:21], v[160:161] neg_lo:[1,0,0] neg_hi:[1,0,0]
	v_pk_fma_f32 v[166:167], v[102:103], s[20:21], v[160:161]
	v_pk_mul_f32 v[168:169], v[138:139], s[28:29]
	v_mov_b32_e32 v93, v167
	v_pk_fma_f32 v[170:171], v[108:109], s[14:15], v[168:169] neg_lo:[1,0,0] neg_hi:[1,0,0]
	v_pk_fma_f32 v[172:173], v[108:109], s[14:15], v[168:169]
	v_pk_mul_f32 v[174:175], v[140:141], s[40:41]
	v_mov_b32_e32 v171, v173
	v_pk_fma_f32 v[176:177], v[114:115], s[26:27], v[174:175] neg_lo:[1,0,0] neg_hi:[1,0,0]
	v_pk_fma_f32 v[178:179], v[114:115], s[26:27], v[174:175]
	v_pk_add_f32 v[92:93], v[48:49], v[92:93]
	v_pk_fma_f32 v[94:95], v[102:103], s[10:11], v[94:95] neg_lo:[0,0,1] neg_hi:[0,0,1]
	v_mov_b32_e32 v177, v179
	v_pk_mul_f32 v[180:181], v[142:143], s[48:49]
	v_pk_add_f32 v[92:93], v[170:171], v[92:93]
	v_mov_b32_e32 v97, v95
	v_pk_fma_f32 v[94:95], v[108:109], s[20:21], v[150:151] neg_lo:[0,0,1] neg_hi:[0,0,1]
	v_pk_fma_f32 v[170:171], v[120:121], s[24:25], v[180:181] neg_lo:[1,0,0] neg_hi:[1,0,0]
	v_pk_add_f32 v[92:93], v[176:177], v[92:93]
	v_pk_fma_f32 v[176:177], v[120:121], s[24:25], v[180:181]
	v_mov_b32_e32 v153, v95
	v_pk_fma_f32 v[94:95], v[114:115], s[18:19], v[156:157] neg_lo:[0,0,1] neg_hi:[0,0,1]
	v_mov_b32_e32 v171, v177
	v_mov_b32_e32 v182, v146
	;; [unrolled: 1-line block ×4, first 2 shown]
	v_pk_fma_f32 v[94:95], v[120:121], s[14:15], v[162:163] neg_lo:[0,0,1] neg_hi:[0,0,1]
	v_pk_add_f32 v[92:93], v[170:171], v[92:93]
	v_mov_b32_e32 v170, v149
	v_mov_b32_e32 v171, v147
	;; [unrolled: 1-line block ×3, first 2 shown]
	v_pk_mul_f32 v[94:95], v[182:183], s[38:39]
	v_pk_mul_f32 v[136:137], v[136:137], s[34:35]
	v_pk_fma_f32 v[150:151], v[170:171], s[16:17], v[94:95]
	v_pk_fma_f32 v[156:157], v[170:171], s[16:17], v[94:95] neg_lo:[1,0,0] neg_hi:[1,0,0]
	v_pk_fma_f32 v[94:95], v[170:171], s[16:17], v[94:95] neg_lo:[0,0,1] neg_hi:[0,0,1]
	v_mov_b32_e32 v157, v151
	v_mov_b32_e32 v151, v95
	v_pk_add_f32 v[94:95], v[48:49], v[96:97]
	v_pk_fma_f32 v[96:97], v[102:103], s[18:19], v[136:137] neg_lo:[1,0,0] neg_hi:[1,0,0]
	v_pk_add_f32 v[94:95], v[152:153], v[94:95]
	v_pk_fma_f32 v[152:153], v[102:103], s[18:19], v[136:137]
	v_pk_add_f32 v[94:95], v[158:159], v[94:95]
	v_pk_mul_f32 v[138:139], v[138:139], s[40:41]
	v_pk_add_f32 v[94:95], v[164:165], v[94:95]
	s_barrier
	v_pk_add_f32 v[94:95], v[150:151], v[94:95]
	v_mov_b32_e32 v97, v153
	v_pk_fma_f32 v[150:151], v[108:109], s[26:27], v[138:139] neg_lo:[1,0,0] neg_hi:[1,0,0]
	ds_write2_b64 v128, v[134:135], v[94:95] offset1:1
	v_pk_fma_f32 v[134:135], v[108:109], s[26:27], v[138:139]
	v_pk_mul_f32 v[140:141], v[140:141], s[42:43]
	v_mov_b32_e32 v151, v135
	v_pk_add_f32 v[96:97], v[48:49], v[96:97]
	v_pk_fma_f32 v[94:95], v[114:115], s[30:31], v[140:141] neg_lo:[1,0,0] neg_hi:[1,0,0]
	v_pk_add_f32 v[96:97], v[150:151], v[96:97]
	v_pk_fma_f32 v[150:151], v[114:115], s[30:31], v[140:141]
	v_pk_mul_f32 v[142:143], v[142:143], s[22:23]
	v_mov_b32_e32 v95, v151
	v_pk_add_f32 v[94:95], v[94:95], v[96:97]
	v_pk_fma_f32 v[96:97], v[120:121], s[10:11], v[142:143] neg_lo:[1,0,0] neg_hi:[1,0,0]
	v_pk_fma_f32 v[158:159], v[120:121], s[10:11], v[142:143]
	v_pk_mul_f32 v[184:185], v[182:183], s[46:47]
	v_mov_b32_e32 v97, v159
	v_pk_mul_f32 v[162:163], v[182:183], s[28:29]
	v_pk_fma_f32 v[186:187], v[170:171], s[36:37], v[184:185] neg_lo:[1,0,0] neg_hi:[1,0,0]
	v_pk_fma_f32 v[188:189], v[170:171], s[36:37], v[184:185]
	v_pk_add_f32 v[94:95], v[96:97], v[94:95]
	v_pk_fma_f32 v[96:97], v[170:171], s[14:15], v[162:163] neg_lo:[1,0,0] neg_hi:[1,0,0]
	v_pk_fma_f32 v[164:165], v[170:171], s[14:15], v[162:163]
	v_mov_b32_e32 v187, v189
	v_mov_b32_e32 v97, v165
	v_pk_mul_f32 v[182:183], v[182:183], s[42:43]
	v_pk_add_f32 v[92:93], v[186:187], v[92:93]
	v_pk_add_f32 v[96:97], v[96:97], v[94:95]
	v_pk_fma_f32 v[94:95], v[170:171], s[30:31], v[182:183] neg_lo:[1,0,0] neg_hi:[1,0,0]
	v_pk_fma_f32 v[186:187], v[170:171], s[30:31], v[182:183]
	s_mov_b32 s2, s19
	v_mov_b32_e32 v95, v187
	v_pk_add_f32 v[94:95], v[94:95], v[50:51]
	v_pk_mul_f32 v[50:51], v[148:149], s[18:19] op_sel_hi:[1,0]
	v_pk_fma_f32 v[136:137], v[102:103], s[18:19], v[136:137] neg_lo:[0,0,1] neg_hi:[0,0,1]
	v_pk_fma_f32 v[148:149], v[146:147], s[2:3], v[50:51] op_sel:[0,0,1] op_sel_hi:[1,0,0]
	v_pk_fma_f32 v[146:147], v[146:147], s[2:3], v[50:51] op_sel:[0,0,1] op_sel_hi:[1,0,0] neg_lo:[0,0,1] neg_hi:[0,0,1]
	v_mov_b32_e32 v50, v148
	v_mov_b32_e32 v51, v147
	v_pk_add_f32 v[144:145], v[50:51], v[144:145]
	v_pk_fma_f32 v[50:51], v[102:103], s[20:21], v[160:161] neg_lo:[0,0,1] neg_hi:[0,0,1]
	v_mov_b32_e32 v153, v137
	v_mov_b32_e32 v167, v51
	v_pk_fma_f32 v[50:51], v[108:109], s[14:15], v[168:169] neg_lo:[0,0,1] neg_hi:[0,0,1]
	v_pk_fma_f32 v[136:137], v[108:109], s[26:27], v[138:139] neg_lo:[0,0,1] neg_hi:[0,0,1]
	v_mov_b32_e32 v173, v51
	v_pk_fma_f32 v[50:51], v[114:115], s[26:27], v[174:175] neg_lo:[0,0,1] neg_hi:[0,0,1]
	v_mov_b32_e32 v135, v137
	v_pk_fma_f32 v[136:137], v[114:115], s[30:31], v[140:141] neg_lo:[0,0,1] neg_hi:[0,0,1]
	v_pk_fma_f32 v[102:103], v[102:103], s[14:15], v[106:107] neg_lo:[0,0,1] neg_hi:[0,0,1]
	v_mov_b32_e32 v179, v51
	v_pk_add_f32 v[50:51], v[156:157], v[154:155]
	v_pk_fma_f32 v[154:155], v[120:121], s[24:25], v[180:181] neg_lo:[0,0,1] neg_hi:[0,0,1]
	v_mov_b32_e32 v151, v137
	v_pk_fma_f32 v[136:137], v[120:121], s[10:11], v[142:143] neg_lo:[0,0,1] neg_hi:[0,0,1]
	v_mov_b32_e32 v105, v103
	v_mov_b32_e32 v177, v155
	v_pk_fma_f32 v[154:155], v[170:171], s[36:37], v[184:185] neg_lo:[0,0,1] neg_hi:[0,0,1]
	v_mov_b32_e32 v159, v137
	v_pk_fma_f32 v[136:137], v[170:171], s[14:15], v[162:163] neg_lo:[0,0,1] neg_hi:[0,0,1]
	v_pk_add_f32 v[102:103], v[48:49], v[104:105]
	v_pk_fma_f32 v[104:105], v[108:109], s[24:25], v[112:113] neg_lo:[0,0,1] neg_hi:[0,0,1]
	v_mov_b32_e32 v53, v55
	v_mov_b32_e32 v189, v155
	v_pk_add_f32 v[154:155], v[48:49], v[166:167]
	v_mov_b32_e32 v165, v137
	v_pk_add_f32 v[136:137], v[48:49], v[152:153]
	v_mov_b32_e32 v111, v105
	v_pk_fma_f32 v[104:105], v[114:115], s[10:11], v[118:119] neg_lo:[0,0,1] neg_hi:[0,0,1]
	v_mov_b32_e32 v57, v59
	v_pk_add_f32 v[48:49], v[48:49], v[52:53]
	v_pk_add_f32 v[154:155], v[172:173], v[154:155]
	v_pk_add_f32 v[134:135], v[134:135], v[136:137]
	v_pk_add_f32 v[102:103], v[110:111], v[102:103]
	v_mov_b32_e32 v117, v105
	v_pk_fma_f32 v[104:105], v[120:121], s[16:17], v[124:125] neg_lo:[0,0,1] neg_hi:[0,0,1]
	v_mov_b32_e32 v61, v63
	v_pk_add_f32 v[48:49], v[56:57], v[48:49]
	v_pk_add_f32 v[154:155], v[178:179], v[154:155]
	v_pk_add_f32 v[134:135], v[150:151], v[134:135]
	;; [unrolled: 7-line block ×3, first 2 shown]
	v_pk_add_f32 v[102:103], v[122:123], v[102:103]
	v_mov_b32_e32 v187, v105
	v_pk_add_f32 v[48:49], v[98:99], v[48:49]
	v_mov_b32_e32 v147, v149
	v_pk_add_f32 v[154:155], v[188:189], v[154:155]
	v_pk_add_f32 v[134:135], v[164:165], v[134:135]
	v_pk_add_f32 v[102:103], v[186:187], v[102:103]
	v_pk_add_f32 v[48:49], v[146:147], v[48:49]
	ds_write2_b64 v128, v[154:155], v[134:135] offset0:2 offset1:3
	ds_write2_b64 v128, v[102:103], v[144:145] offset0:4 offset1:5
	;; [unrolled: 1-line block ×4, first 2 shown]
	ds_write_b64 v128, v[50:51] offset:80
	v_add_u32_e32 v48, 0x400, v75
	s_waitcnt lgkmcnt(0)
	s_barrier
	ds_read2_b64 v[52:55], v75 offset1:121
	ds_read2_b64 v[60:63], v48 offset0:114 offset1:235
	ds_read2_b64 v[56:59], v132 offset0:100 offset1:221
	ds_read_b64 v[114:115], v75 offset:5808
	s_and_saveexec_b64 s[2:3], s[0:1]
	s_xor_b64 s[0:1], exec, s[2:3]
	s_andn2_saveexec_b64 s[0:1], s[0:1]
	s_cbranch_execz .LBB0_7
; %bb.6:
	v_add_u32_e32 v24, 0x1000, v75
	v_add_u32_e32 v48, 0x800, v75
	ds_read2_b64 v[24:27], v24 offset0:49 offset1:170
	ds_read_b64 v[92:93], v75 offset:6424
	ds_read2_b64 v[94:97], v75 offset0:77 offset1:198
	ds_read2_b64 v[48:51], v48 offset0:63 offset1:184
	s_waitcnt lgkmcnt(3)
	v_mov_b32_e32 v90, v27
	s_waitcnt lgkmcnt(2)
	v_mov_b32_e32 v91, v93
	v_mov_b32_e32 v27, v92
	s_waitcnt lgkmcnt(0)
	v_mov_b64_e32 v[92:93], v[48:49]
.LBB0_7:
	s_or_b64 exec, exec, s[0:1]
	v_mov_b32_e32 v128, v21
	s_waitcnt lgkmcnt(2)
	v_pk_mul_f32 v[134:135], v[20:21], v[62:63] op_sel:[0,1] op_sel_hi:[1,0]
	v_pk_mul_f32 v[132:133], v[128:129], v[62:63] op_sel:[0,1] op_sel_hi:[1,0]
	v_mov_b32_e32 v128, v135
	v_pk_mul_f32 v[116:117], v[16:17], v[54:55] op_sel_hi:[1,0]
	v_mov_b32_e32 v118, v55
	v_pk_mul_f32 v[124:125], v[20:21], v[62:63]
	v_pk_fma_f32 v[20:21], v[20:21], v[62:63], v[128:129] op_sel:[0,1,0] op_sel_hi:[1,0,1] neg_lo:[0,0,1] neg_hi:[0,0,1]
	v_mov_b32_e32 v128, v23
	s_waitcnt lgkmcnt(1)
	v_pk_mul_f32 v[136:137], v[22:23], v[56:57] op_sel:[0,1] op_sel_hi:[1,0]
	v_pk_mul_f32 v[120:121], v[18:19], v[60:61] op_sel_hi:[1,0]
	v_mov_b32_e32 v122, v61
	v_pk_mul_f32 v[134:135], v[128:129], v[56:57] op_sel:[0,1] op_sel_hi:[1,0]
	v_mov_b32_e32 v128, v137
	v_pk_fma_f32 v[118:119], v[16:17], v[118:119], v[116:117] op_sel:[0,0,1] op_sel_hi:[1,1,0] neg_lo:[0,0,1] neg_hi:[0,0,1]
	v_pk_fma_f32 v[16:17], v[16:17], v[54:55], v[116:117] op_sel:[0,1,1] op_sel_hi:[1,1,0]
	v_pk_mul_f32 v[62:63], v[22:23], v[56:57]
	v_pk_fma_f32 v[22:23], v[22:23], v[56:57], v[128:129] op_sel:[0,1,0] op_sel_hi:[1,0,1] neg_lo:[0,0,1] neg_hi:[0,0,1]
	v_pk_mul_f32 v[56:57], v[12:13], v[58:59] op_sel_hi:[1,0]
	v_mov_b32_e32 v128, v59
	v_mov_b32_e32 v119, v17
	v_pk_fma_f32 v[16:17], v[18:19], v[122:123], v[120:121] op_sel:[0,0,1] op_sel_hi:[1,1,0] neg_lo:[0,0,1] neg_hi:[0,0,1]
	v_pk_fma_f32 v[18:19], v[18:19], v[60:61], v[120:121] op_sel:[0,1,1] op_sel_hi:[1,1,0]
	s_waitcnt lgkmcnt(0)
	v_pk_mul_f32 v[136:137], v[14:15], v[114:115] op_sel_hi:[1,0]
	v_mov_b32_e32 v138, v115
	v_mov_b32_e32 v17, v19
	v_pk_fma_f32 v[18:19], v[12:13], v[128:129], v[56:57] op_sel:[0,0,1] op_sel_hi:[1,1,0] neg_lo:[0,0,1] neg_hi:[0,0,1]
	v_pk_fma_f32 v[12:13], v[12:13], v[58:59], v[56:57] op_sel:[0,1,1] op_sel_hi:[1,1,0]
	v_mov_b32_e32 v63, v118
	v_mov_b32_e32 v19, v13
	v_pk_fma_f32 v[12:13], v[14:15], v[138:139], v[136:137] op_sel:[0,0,1] op_sel_hi:[1,1,0] neg_lo:[0,0,1] neg_hi:[0,0,1]
	v_pk_fma_f32 v[14:15], v[14:15], v[114:115], v[136:137] op_sel:[0,1,1] op_sel_hi:[1,1,0]
	v_mov_b32_e32 v135, v12
	v_mov_b32_e32 v13, v15
	;; [unrolled: 1-line block ×4, first 2 shown]
	v_pk_add_f32 v[14:15], v[118:119], v[12:13]
	v_pk_add_f32 v[54:55], v[118:119], v[12:13] neg_lo:[0,1] neg_hi:[0,1]
	v_pk_add_f32 v[56:57], v[16:17], v[18:19]
	v_pk_add_f32 v[58:59], v[16:17], v[18:19] neg_lo:[0,1] neg_hi:[0,1]
	v_pk_add_f32 v[12:13], v[62:63], v[134:135]
	v_pk_add_f32 v[16:17], v[124:125], v[132:133]
	v_mov_b32_e32 v23, v12
	v_mov_b32_e32 v21, v16
	v_pk_add_f32 v[18:19], v[22:23], v[20:21] neg_lo:[0,1] neg_hi:[0,1]
	v_mov_b32_e32 v116, v57
	v_mov_b32_e32 v117, v20
	;; [unrolled: 1-line block ×4, first 2 shown]
	v_pk_add_f32 v[20:21], v[116:117], v[20:21]
	v_pk_add_f32 v[22:23], v[16:17], v[12:13]
	v_mov_b32_e32 v60, v18
	v_mov_b32_e32 v61, v55
	;; [unrolled: 1-line block ×4, first 2 shown]
	s_mov_b32 s2, 0x3f08b237
	v_mov_b32_e32 v12, v22
	v_mov_b32_e32 v117, v21
	s_mov_b32 s18, 0x3d64c772
	v_pk_add_f32 v[60:61], v[60:61], v[62:63] neg_lo:[0,1] neg_hi:[0,1]
	s_mov_b32 s3, 0xbeae86e6
	v_mov_b32_e32 v62, v54
	v_mov_b32_e32 v114, v18
	;; [unrolled: 1-line block ×3, first 2 shown]
	v_pk_add_f32 v[116:117], v[12:13], v[116:117] neg_lo:[0,1] neg_hi:[0,1]
	v_mov_b32_e32 v118, v15
	v_mov_b32_e32 v119, v21
	;; [unrolled: 1-line block ×3, first 2 shown]
	v_pk_add_f32 v[20:21], v[20:21], v[22:23]
	s_mov_b32 s19, 0x3f4a47b2
	v_pk_mul_f32 v[60:61], v[60:61], s[2:3]
	v_pk_add_f32 v[62:63], v[62:63], v[114:115] neg_lo:[0,1] neg_hi:[0,1]
	s_mov_b32 s14, s3
	s_mov_b32 s15, s2
	v_pk_add_f32 v[18:19], v[18:19], v[58:59]
	v_pk_add_f32 v[118:119], v[118:119], v[16:17] neg_lo:[0,1] neg_hi:[0,1]
	v_pk_add_f32 v[22:23], v[52:53], v[20:21]
	s_mov_b32 s16, 0xbf955555
	v_pk_mul_f32 v[52:53], v[116:117], s[18:19]
	s_mov_b32 s20, s19
	s_mov_b32 s21, s18
	v_pk_mul_f32 v[114:115], v[62:63], s[14:15]
	v_pk_add_f32 v[18:19], v[18:19], v[54:55]
	s_mov_b32 s0, 0xbee1c552
	v_pk_mul_f32 v[116:117], v[118:119], s[20:21]
	v_pk_fma_f32 v[20:21], v[20:21], s[16:17], v[22:23] op_sel_hi:[1,0,1]
	v_pk_fma_f32 v[118:119], v[118:119], s[20:21], v[52:53]
	v_pk_fma_f32 v[62:63], v[62:63], s[14:15], v[60:61]
	v_pk_add_f32 v[118:119], v[118:119], v[20:21]
	v_pk_fma_f32 v[62:63], v[18:19], s[0:1], v[62:63] op_sel_hi:[1,0,1]
	v_mov_b32_e32 v16, v57
	v_pk_add_f32 v[120:121], v[118:119], v[62:63]
	v_pk_add_f32 v[62:63], v[118:119], v[62:63] neg_lo:[0,1] neg_hi:[0,1]
	v_mov_b32_e32 v118, v120
	v_mov_b32_e32 v119, v63
	;; [unrolled: 1-line block ×3, first 2 shown]
	s_barrier
	ds_write2_b64 v131, v[22:23], v[118:119] offset1:11
	v_pk_add_f32 v[22:23], v[58:59], v[54:55] neg_lo:[0,1] neg_hi:[0,1]
	s_mov_b32 s8, 0xbf5ff5aa
	v_pk_add_f32 v[12:13], v[16:17], v[12:13] neg_lo:[0,1] neg_hi:[0,1]
	s_mov_b32 s10, 0x3f3bfb3b
	v_mov_b32_e32 v14, v116
	v_mov_b32_e32 v15, v53
	;; [unrolled: 1-line block ×6, first 2 shown]
	v_pk_fma_f32 v[14:15], v[12:13], s[10:11], v[14:15] op_sel_hi:[1,0,1] neg_lo:[1,0,1] neg_hi:[1,0,1]
	v_pk_fma_f32 v[16:17], v[22:23], s[8:9], v[16:17] op_sel_hi:[1,0,1] neg_lo:[1,0,1] neg_hi:[1,0,1]
	;; [unrolled: 1-line block ×4, first 2 shown]
	v_pk_add_f32 v[14:15], v[14:15], v[20:21]
	v_pk_fma_f32 v[16:17], v[18:19], s[0:1], v[16:17] op_sel_hi:[1,0,1]
	v_pk_add_f32 v[12:13], v[12:13], v[20:21]
	v_pk_fma_f32 v[18:19], v[18:19], s[0:1], v[22:23] op_sel_hi:[1,0,1]
	v_pk_add_f32 v[54:55], v[14:15], v[16:17]
	v_pk_add_f32 v[14:15], v[14:15], v[16:17] neg_lo:[0,1] neg_hi:[0,1]
	v_pk_add_f32 v[20:21], v[12:13], v[18:19] neg_lo:[0,1] neg_hi:[0,1]
	v_pk_add_f32 v[12:13], v[12:13], v[18:19]
	v_mov_b32_e32 v112, v30
	v_mov_b32_e32 v113, v30
	;; [unrolled: 1-line block ×34, first 2 shown]
	ds_write2_b64 v131, v[16:17], v[18:19] offset0:22 offset1:33
	ds_write2_b64 v131, v[12:13], v[14:15] offset0:44 offset1:55
	ds_write_b64 v131, v[62:63] offset:528
	s_and_saveexec_b64 s[22:23], vcc
	s_cbranch_execz .LBB0_9
; %bb.8:
	v_pk_mul_f32 v[14:15], v[6:7], v[26:27] op_sel:[0,1]
	v_pk_mul_f32 v[22:23], v[4:5], v[26:27] op_sel_hi:[1,0]
	v_pk_mul_f32 v[26:27], v[8:9], v[50:51] op_sel:[1,0] op_sel_hi:[0,1]
	v_mov_b32_e32 v26, v27
	v_pk_mul_f32 v[18:19], v[8:9], v[50:51]
	v_pk_fma_f32 v[8:9], v[8:9], v[50:51], v[26:27] op_sel:[1,0,0] op_sel_hi:[0,1,1] neg_lo:[1,0,0] neg_hi:[1,0,0]
	v_pk_mul_f32 v[26:27], v[88:89], v[24:25]
	v_pk_mul_f32 v[12:13], v[0:1], v[96:97] op_sel_hi:[1,0]
	v_mov_b32_e32 v26, v27
	v_pk_mul_f32 v[10:11], v[10:11], v[24:25]
	v_mov_b32_e32 v16, v25
	v_pk_fma_f32 v[24:25], v[88:89], v[24:25], v[26:27] neg_lo:[1,0,0] neg_hi:[1,0,0]
	v_pk_fma_f32 v[26:27], v[6:7], v[90:91], v[14:15] op_sel:[0,1,1] op_sel_hi:[1,1,0] neg_lo:[0,0,1] neg_hi:[0,0,1]
	v_pk_fma_f32 v[6:7], v[6:7], v[90:91], v[14:15] op_sel:[0,1,1] op_sel_hi:[1,1,0]
	v_pk_mul_f32 v[20:21], v[2:3], v[92:93] op_sel_hi:[1,0]
	v_mov_b32_e32 v27, v7
	v_pk_fma_f32 v[6:7], v[0:1], v[96:97], v[12:13] op_sel:[0,1,1] op_sel_hi:[1,1,0] neg_lo:[0,0,1] neg_hi:[0,0,1]
	v_pk_fma_f32 v[0:1], v[0:1], v[96:97], v[12:13] op_sel:[0,1,1] op_sel_hi:[1,1,0]
	v_pk_mul_f32 v[16:17], v[88:89], v[16:17]
	v_mov_b32_e32 v7, v1
	v_pk_fma_f32 v[0:1], v[4:5], v[90:91], v[22:23] op_sel:[0,0,1] op_sel_hi:[1,1,0] neg_lo:[0,0,1] neg_hi:[0,0,1]
	v_pk_fma_f32 v[4:5], v[4:5], v[90:91], v[22:23] op_sel:[0,0,1] op_sel_hi:[1,0,0]
	v_mov_b32_e32 v11, v26
	v_mov_b32_e32 v1, v5
	v_pk_fma_f32 v[4:5], v[2:3], v[92:93], v[20:21] op_sel:[0,1,1] op_sel_hi:[1,1,0] neg_lo:[0,0,1] neg_hi:[0,0,1]
	v_pk_fma_f32 v[2:3], v[2:3], v[92:93], v[20:21] op_sel:[0,1,1] op_sel_hi:[1,1,0]
	v_mov_b32_e32 v17, v6
	v_mov_b32_e32 v5, v3
	v_mul_u32_u24_e32 v9, 0x4d, v129
	v_pk_add_f32 v[2:3], v[26:27], v[6:7]
	v_pk_add_f32 v[12:13], v[0:1], v[4:5]
	v_pk_add_f32 v[14:15], v[6:7], v[26:27] neg_lo:[0,1] neg_hi:[0,1]
	v_pk_add_f32 v[20:21], v[4:5], v[0:1] neg_lo:[0,1] neg_hi:[0,1]
	v_pk_add_f32 v[6:7], v[10:11], v[16:17]
	v_mov_b32_e32 v10, v18
	v_mov_b32_e32 v11, v0
	;; [unrolled: 1-line block ×4, first 2 shown]
	v_add_u32_sdwa v9, v9, v130 dst_sel:DWORD dst_unused:UNUSED_PAD src0_sel:DWORD src1_sel:BYTE_0
	v_pk_add_f32 v[0:1], v[10:11], v[0:1]
	v_lshl_add_u32 v54, v9, 3, v127
	v_mov_b32_e32 v25, v6
	v_mov_b32_e32 v9, v0
	v_pk_add_f32 v[4:5], v[24:25], v[8:9] neg_lo:[0,1] neg_hi:[0,1]
	v_mov_b32_e32 v23, v15
	v_mov_b32_e32 v16, v4
	v_pk_add_f32 v[18:19], v[4:5], v[20:21]
	v_mov_b32_e32 v22, v4
	v_mov_b32_e32 v4, v20
	;; [unrolled: 1-line block ×3, first 2 shown]
	v_pk_add_f32 v[4:5], v[22:23], v[4:5] neg_lo:[0,1] neg_hi:[0,1]
	v_mov_b32_e32 v22, v13
	v_mov_b32_e32 v23, v8
	;; [unrolled: 1-line block ×4, first 2 shown]
	v_pk_add_f32 v[8:9], v[22:23], v[8:9]
	v_pk_add_f32 v[22:23], v[0:1], v[6:7]
	v_mov_b32_e32 v10, v14
	v_pk_add_f32 v[24:25], v[8:9], v[22:23]
	v_mov_b32_e32 v8, v3
	v_mov_b32_e32 v23, v1
	;; [unrolled: 1-line block ×3, first 2 shown]
	v_pk_add_f32 v[50:51], v[8:9], v[22:23] neg_lo:[0,1] neg_hi:[0,1]
	v_mov_b32_e32 v23, v7
	v_mov_b32_e32 v8, v13
	v_pk_add_f32 v[10:11], v[10:11], v[16:17] neg_lo:[0,1] neg_hi:[0,1]
	v_pk_add_f32 v[8:9], v[22:23], v[8:9] neg_lo:[0,1] neg_hi:[0,1]
	v_pk_mul_f32 v[16:17], v[10:11], s[14:15]
	v_pk_mul_f32 v[4:5], v[4:5], s[2:3]
	;; [unrolled: 1-line block ×4, first 2 shown]
	v_mov_b32_e32 v0, v13
	v_mov_b32_e32 v6, v3
	v_pk_add_f32 v[18:19], v[18:19], v[14:15]
	v_pk_fma_f32 v[10:11], v[10:11], s[14:15], v[4:5]
	v_pk_add_f32 v[26:27], v[94:95], v[24:25]
	v_pk_fma_f32 v[22:23], v[50:51], s[20:21], v[8:9]
	v_pk_add_f32 v[14:15], v[20:21], v[14:15] neg_lo:[0,1] neg_hi:[0,1]
	v_mov_b32_e32 v20, v16
	v_mov_b32_e32 v21, v5
	v_pk_add_f32 v[0:1], v[0:1], v[6:7] neg_lo:[0,1] neg_hi:[0,1]
	v_mov_b32_e32 v2, v52
	v_mov_b32_e32 v3, v9
	;; [unrolled: 1-line block ×4, first 2 shown]
	v_pk_fma_f32 v[24:25], v[24:25], s[16:17], v[26:27] op_sel_hi:[1,0,1]
	v_pk_fma_f32 v[20:21], v[14:15], s[8:9], v[20:21] op_sel_hi:[1,0,1] neg_lo:[1,0,1] neg_hi:[1,0,1]
	v_pk_fma_f32 v[2:3], v[0:1], s[10:11], v[2:3] op_sel_hi:[1,0,1] neg_lo:[1,0,1] neg_hi:[1,0,1]
	;; [unrolled: 1-line block ×4, first 2 shown]
	v_pk_fma_f32 v[10:11], v[18:19], s[0:1], v[10:11] op_sel_hi:[1,0,1]
	v_pk_add_f32 v[22:23], v[22:23], v[24:25]
	v_pk_fma_f32 v[20:21], v[18:19], s[0:1], v[20:21] op_sel_hi:[1,0,1]
	v_pk_add_f32 v[2:3], v[2:3], v[24:25]
	;; [unrolled: 2-line block ×3, first 2 shown]
	v_pk_add_f32 v[50:51], v[22:23], v[10:11]
	v_pk_add_f32 v[10:11], v[22:23], v[10:11] neg_lo:[0,1] neg_hi:[0,1]
	v_pk_add_f32 v[6:7], v[2:3], v[20:21]
	v_pk_add_f32 v[2:3], v[2:3], v[20:21] neg_lo:[0,1] neg_hi:[0,1]
	v_pk_add_f32 v[8:9], v[0:1], v[4:5] neg_lo:[0,1] neg_hi:[0,1]
	v_pk_add_f32 v[0:1], v[0:1], v[4:5]
	v_mov_b32_e32 v22, v50
	v_mov_b32_e32 v23, v11
	;; [unrolled: 1-line block ×9, first 2 shown]
	ds_write2_b64 v54, v[26:27], v[22:23] offset1:11
	ds_write2_b64 v54, v[12:13], v[4:5] offset0:22 offset1:33
	ds_write2_b64 v54, v[0:1], v[2:3] offset0:44 offset1:55
	ds_write_b64 v54, v[10:11] offset:528
.LBB0_9:
	s_or_b64 exec, exec, s[22:23]
	s_waitcnt lgkmcnt(0)
	s_barrier
	ds_read2_b64 v[10:13], v75 offset0:154 offset1:231
	ds_read2_b64 v[0:3], v75 offset1:77
	v_add_u32_e32 v9, 0x800, v75
	ds_read2_b64 v[14:17], v9 offset0:52 offset1:129
	v_add_u32_e32 v127, 0xc00, v75
	s_waitcnt lgkmcnt(2)
	v_pk_mul_f32 v[30:31], v[30:31], v[10:11]
	ds_read2_b64 v[18:21], v127 offset0:78 offset1:155
	v_pk_fma_f32 v[50:51], v[112:113], v[10:11], v[30:31] op_sel:[0,0,1] op_sel_hi:[1,1,0]
	v_pk_fma_f32 v[10:11], v[112:113], v[10:11], v[30:31] op_sel:[0,0,1] op_sel_hi:[1,1,0] neg_lo:[0,0,1] neg_hi:[0,0,1]
	v_add_u32_e32 v8, 0x1000, v75
	v_mov_b32_e32 v51, v11
	v_pk_mul_f32 v[10:11], v[44:45], v[12:13]
	ds_read2_b64 v[22:25], v8 offset0:104 offset1:181
	ds_read_b64 v[26:27], v75 offset:6160
	v_pk_fma_f32 v[30:31], v[110:111], v[12:13], v[10:11] op_sel:[0,0,1] op_sel_hi:[1,1,0]
	v_pk_fma_f32 v[10:11], v[110:111], v[12:13], v[10:11] op_sel:[0,0,1] op_sel_hi:[1,1,0] neg_lo:[0,0,1] neg_hi:[0,0,1]
	v_mad_u64_u32 v[6:7], s[0:1], s6, v74, 0
	v_mov_b32_e32 v31, v11
	s_waitcnt lgkmcnt(3)
	v_pk_mul_f32 v[10:11], v[46:47], v[14:15]
	s_mov_b32 s10, 0xbf0a6770
	v_pk_fma_f32 v[12:13], v[108:109], v[14:15], v[10:11] op_sel:[0,0,1] op_sel_hi:[1,1,0]
	v_pk_fma_f32 v[10:11], v[108:109], v[14:15], v[10:11] op_sel:[0,0,1] op_sel_hi:[1,1,0] neg_lo:[0,0,1] neg_hi:[0,0,1]
	s_mov_b32 s0, 0x3f575c64
	v_mov_b32_e32 v13, v11
	v_pk_mul_f32 v[10:11], v[40:41], v[16:17]
	s_mov_b32 s20, 0xbf68dda4
	v_pk_fma_f32 v[14:15], v[106:107], v[16:17], v[10:11] op_sel:[0,0,1] op_sel_hi:[1,1,0]
	v_pk_fma_f32 v[10:11], v[106:107], v[16:17], v[10:11] op_sel:[0,0,1] op_sel_hi:[1,1,0] neg_lo:[0,0,1] neg_hi:[0,0,1]
	s_mov_b32 s2, 0x3ed4b147
	v_mov_b32_e32 v15, v11
	s_waitcnt lgkmcnt(2)
	v_pk_mul_f32 v[10:11], v[42:43], v[18:19]
	s_mov_b32 s8, 0xbf7d64f0
	v_pk_fma_f32 v[16:17], v[104:105], v[18:19], v[10:11] op_sel:[0,0,1] op_sel_hi:[1,1,0]
	v_pk_fma_f32 v[10:11], v[104:105], v[18:19], v[10:11] op_sel:[0,0,1] op_sel_hi:[1,1,0] neg_lo:[0,0,1] neg_hi:[0,0,1]
	s_mov_b32 s6, 0xbe11bafb
	v_mov_b32_e32 v17, v11
	v_pk_mul_f32 v[10:11], v[32:33], v[20:21]
	s_mov_b32 s14, 0xbf4178ce
	v_pk_fma_f32 v[18:19], v[102:103], v[20:21], v[10:11] op_sel:[0,0,1] op_sel_hi:[1,1,0]
	v_pk_fma_f32 v[10:11], v[102:103], v[20:21], v[10:11] op_sel:[0,0,1] op_sel_hi:[1,1,0] neg_lo:[0,0,1] neg_hi:[0,0,1]
	v_mov_b32_e32 v4, s12
	v_mov_b32_e32 v19, v11
	s_waitcnt lgkmcnt(1)
	v_pk_mul_f32 v[10:11], v[34:35], v[22:23]
	s_mov_b32 s12, 0xbf27a4f4
	v_pk_fma_f32 v[20:21], v[100:101], v[22:23], v[10:11] op_sel:[0,0,1] op_sel_hi:[1,1,0]
	v_pk_fma_f32 v[10:11], v[100:101], v[22:23], v[10:11] op_sel:[0,0,1] op_sel_hi:[1,1,0] neg_lo:[0,0,1] neg_hi:[0,0,1]
	s_mov_b32 s18, 0xbe903f40
	v_mov_b32_e32 v21, v11
	v_pk_mul_f32 v[10:11], v[36:37], v[24:25]
	s_mov_b32 s16, 0xbf75a155
	v_pk_fma_f32 v[22:23], v[98:99], v[24:25], v[10:11] op_sel:[0,0,1] op_sel_hi:[1,1,0]
	v_pk_fma_f32 v[10:11], v[98:99], v[24:25], v[10:11] op_sel:[0,0,1] op_sel_hi:[1,1,0] neg_lo:[0,0,1] neg_hi:[0,0,1]
	s_mov_b32 s22, 0x3f7d64f0
	v_mov_b32_e32 v23, v11
	s_waitcnt lgkmcnt(0)
	v_pk_mul_f32 v[10:11], v[38:39], v[26:27]
	v_pk_add_f32 v[34:35], v[50:51], v[22:23]
	v_pk_fma_f32 v[24:25], v[48:49], v[26:27], v[10:11] op_sel:[0,0,1] op_sel_hi:[1,1,0]
	v_pk_fma_f32 v[10:11], v[48:49], v[26:27], v[10:11] op_sel:[0,0,1] op_sel_hi:[1,1,0] neg_lo:[0,0,1] neg_hi:[0,0,1]
	s_mov_b32 s24, 0x3f0a6770
	v_mov_b32_e32 v25, v11
	v_pk_mul_f32 v[10:11], v[28:29], v[2:3] op_sel:[1,0]
	v_mov_b32_e32 v5, s13
	v_pk_fma_f32 v[26:27], v[28:29], v[2:3], v[10:11] op_sel:[0,0,1] op_sel_hi:[1,1,0]
	v_pk_fma_f32 v[2:3], v[28:29], v[2:3], v[10:11] op_sel:[0,0,1] op_sel_hi:[0,1,0] neg_lo:[0,0,1] neg_hi:[0,0,1]
	v_mov_b32_e32 v27, v3
	v_pk_add_f32 v[2:3], v[0:1], v[26:27]
	v_pk_add_f32 v[10:11], v[26:27], v[24:25]
	v_pk_add_f32 v[2:3], v[2:3], v[50:51]
	s_nop 0
	v_pk_add_f32 v[2:3], v[2:3], v[30:31]
	s_nop 0
	v_pk_add_f32 v[2:3], v[2:3], v[12:13]
	;; [unrolled: 2-line block ×7, first 2 shown]
	v_pk_add_f32 v[22:23], v[50:51], v[22:23] neg_lo:[0,1] neg_hi:[0,1]
	v_pk_add_f32 v[2:3], v[2:3], v[24:25]
	v_pk_add_f32 v[24:25], v[26:27], v[24:25] neg_lo:[0,1] neg_hi:[0,1]
	v_pk_mul_f32 v[36:37], v[22:23], s[20:21] op_sel_hi:[1,0]
	v_pk_mul_f32 v[26:27], v[24:25], s[10:11] op_sel_hi:[1,0]
	v_pk_fma_f32 v[38:39], v[34:35], s[2:3], v[36:37] op_sel:[0,0,1] op_sel_hi:[1,0,0]
	v_pk_fma_f32 v[28:29], v[10:11], s[0:1], v[26:27] op_sel:[0,0,1] op_sel_hi:[1,0,0]
	v_pk_fma_f32 v[26:27], v[10:11], s[0:1], v[26:27] op_sel:[0,0,1] op_sel_hi:[1,0,0] neg_lo:[0,0,1] neg_hi:[0,0,1]
	v_mov_b32_e32 v32, v28
	v_mov_b32_e32 v33, v27
	v_pk_fma_f32 v[36:37], v[34:35], s[2:3], v[36:37] op_sel:[0,0,1] op_sel_hi:[1,0,0] neg_lo:[0,0,1] neg_hi:[0,0,1]
	v_pk_add_f32 v[32:33], v[0:1], v[32:33]
	v_mov_b32_e32 v40, v38
	v_mov_b32_e32 v41, v37
	v_pk_add_f32 v[32:33], v[40:41], v[32:33]
	v_pk_add_f32 v[40:41], v[30:31], v[20:21]
	v_pk_add_f32 v[20:21], v[30:31], v[20:21] neg_lo:[0,1] neg_hi:[0,1]
	v_pk_mul_f32 v[54:55], v[22:23], s[14:15] op_sel_hi:[1,0]
	v_pk_mul_f32 v[30:31], v[20:21], s[8:9] op_sel_hi:[1,0]
	v_pk_fma_f32 v[56:57], v[34:35], s[12:13], v[54:55] op_sel:[0,0,1] op_sel_hi:[1,0,0]
	v_pk_fma_f32 v[42:43], v[40:41], s[6:7], v[30:31] op_sel:[0,0,1] op_sel_hi:[1,0,0]
	v_pk_fma_f32 v[30:31], v[40:41], s[6:7], v[30:31] op_sel:[0,0,1] op_sel_hi:[1,0,0] neg_lo:[0,0,1] neg_hi:[0,0,1]
	v_mov_b32_e32 v44, v42
	v_mov_b32_e32 v45, v31
	v_pk_add_f32 v[32:33], v[44:45], v[32:33]
	v_pk_add_f32 v[44:45], v[12:13], v[18:19]
	v_pk_add_f32 v[12:13], v[12:13], v[18:19] neg_lo:[0,1] neg_hi:[0,1]
	v_pk_fma_f32 v[54:55], v[34:35], s[12:13], v[54:55] op_sel:[0,0,1] op_sel_hi:[1,0,0] neg_lo:[0,0,1] neg_hi:[0,0,1]
	v_pk_mul_f32 v[18:19], v[12:13], s[14:15] op_sel_hi:[1,0]
	v_mov_b32_e32 v58, v56
	v_pk_fma_f32 v[46:47], v[44:45], s[12:13], v[18:19] op_sel:[0,0,1] op_sel_hi:[1,0,0]
	v_pk_fma_f32 v[18:19], v[44:45], s[12:13], v[18:19] op_sel:[0,0,1] op_sel_hi:[1,0,0] neg_lo:[0,0,1] neg_hi:[0,0,1]
	v_mov_b32_e32 v48, v46
	v_mov_b32_e32 v49, v19
	v_pk_add_f32 v[32:33], v[48:49], v[32:33]
	v_pk_add_f32 v[48:49], v[14:15], v[16:17]
	v_pk_add_f32 v[14:15], v[14:15], v[16:17] neg_lo:[0,1] neg_hi:[0,1]
	v_mov_b32_e32 v59, v55
	v_pk_mul_f32 v[16:17], v[14:15], s[18:19] op_sel_hi:[1,0]
	v_pk_mul_f32 v[118:119], v[22:23], s[22:23] op_sel_hi:[1,0]
	v_pk_fma_f32 v[50:51], v[48:49], s[16:17], v[16:17] op_sel:[0,0,1] op_sel_hi:[1,0,0]
	v_pk_fma_f32 v[16:17], v[48:49], s[16:17], v[16:17] op_sel:[0,0,1] op_sel_hi:[1,0,0] neg_lo:[0,0,1] neg_hi:[0,0,1]
	v_mov_b32_e32 v52, v50
	v_mov_b32_e32 v53, v17
	v_pk_add_f32 v[32:33], v[52:53], v[32:33]
	ds_write2_b64 v75, v[2:3], v[32:33] offset1:77
	v_pk_mul_f32 v[2:3], v[24:25], s[20:21] op_sel_hi:[1,0]
	s_mov_b32 s20, 0x3e903f40
	v_pk_fma_f32 v[32:33], v[10:11], s[2:3], v[2:3] op_sel:[0,0,1] op_sel_hi:[1,0,0]
	v_pk_fma_f32 v[2:3], v[10:11], s[2:3], v[2:3] op_sel:[0,0,1] op_sel_hi:[1,0,0] neg_lo:[0,0,1] neg_hi:[0,0,1]
	v_mov_b32_e32 v52, v32
	v_mov_b32_e32 v53, v3
	v_pk_add_f32 v[52:53], v[0:1], v[52:53]
	v_pk_mul_f32 v[100:101], v[22:23], s[20:21] op_sel_hi:[1,0]
	v_pk_add_f32 v[52:53], v[58:59], v[52:53]
	v_pk_mul_f32 v[58:59], v[20:21], s[20:21] op_sel_hi:[1,0]
	v_pk_fma_f32 v[102:103], v[34:35], s[16:17], v[100:101] op_sel:[0,0,1] op_sel_hi:[1,0,0]
	v_pk_fma_f32 v[60:61], v[40:41], s[16:17], v[58:59] op_sel:[0,0,1] op_sel_hi:[1,0,0]
	v_pk_fma_f32 v[58:59], v[40:41], s[16:17], v[58:59] op_sel:[0,0,1] op_sel_hi:[1,0,0] neg_lo:[0,0,1] neg_hi:[0,0,1]
	v_mov_b32_e32 v62, v60
	v_mov_b32_e32 v63, v59
	v_pk_add_f32 v[52:53], v[62:63], v[52:53]
	v_pk_mul_f32 v[62:63], v[12:13], s[22:23] op_sel_hi:[1,0]
	v_pk_fma_f32 v[100:101], v[34:35], s[16:17], v[100:101] op_sel:[0,0,1] op_sel_hi:[1,0,0] neg_lo:[0,0,1] neg_hi:[0,0,1]
	v_pk_fma_f32 v[88:89], v[44:45], s[6:7], v[62:63] op_sel:[0,0,1] op_sel_hi:[1,0,0]
	v_pk_fma_f32 v[62:63], v[44:45], s[6:7], v[62:63] op_sel:[0,0,1] op_sel_hi:[1,0,0] neg_lo:[0,0,1] neg_hi:[0,0,1]
	v_mov_b32_e32 v90, v88
	v_mov_b32_e32 v91, v63
	v_pk_add_f32 v[52:53], v[90:91], v[52:53]
	v_pk_mul_f32 v[90:91], v[14:15], s[24:25] op_sel_hi:[1,0]
	v_mov_b32_e32 v104, v102
	v_pk_fma_f32 v[92:93], v[48:49], s[0:1], v[90:91] op_sel:[0,0,1] op_sel_hi:[1,0,0]
	v_pk_fma_f32 v[90:91], v[48:49], s[0:1], v[90:91] op_sel:[0,0,1] op_sel_hi:[1,0,0] neg_lo:[0,0,1] neg_hi:[0,0,1]
	v_mov_b32_e32 v94, v92
	v_mov_b32_e32 v95, v91
	v_pk_add_f32 v[52:53], v[94:95], v[52:53]
	v_pk_mul_f32 v[94:95], v[24:25], s[8:9] op_sel_hi:[1,0]
	v_mov_b32_e32 v105, v101
	v_pk_fma_f32 v[96:97], v[10:11], s[6:7], v[94:95] op_sel:[0,0,1] op_sel_hi:[1,0,0]
	v_pk_fma_f32 v[94:95], v[10:11], s[6:7], v[94:95] op_sel:[0,0,1] op_sel_hi:[1,0,0] neg_lo:[0,0,1] neg_hi:[0,0,1]
	v_mov_b32_e32 v98, v96
	v_mov_b32_e32 v99, v95
	v_pk_add_f32 v[98:99], v[0:1], v[98:99]
	s_mov_b32 s20, 0x3f68dda4
	v_pk_add_f32 v[98:99], v[104:105], v[98:99]
	v_pk_mul_f32 v[104:105], v[20:21], s[20:21] op_sel_hi:[1,0]
	v_pk_fma_f32 v[120:121], v[34:35], s[6:7], v[118:119] op_sel:[0,0,1] op_sel_hi:[1,0,0]
	v_pk_fma_f32 v[106:107], v[40:41], s[2:3], v[104:105] op_sel:[0,0,1] op_sel_hi:[1,0,0]
	v_pk_fma_f32 v[104:105], v[40:41], s[2:3], v[104:105] op_sel:[0,0,1] op_sel_hi:[1,0,0] neg_lo:[0,0,1] neg_hi:[0,0,1]
	v_mov_b32_e32 v108, v106
	v_mov_b32_e32 v109, v105
	v_pk_add_f32 v[98:99], v[108:109], v[98:99]
	v_pk_mul_f32 v[108:109], v[12:13], s[10:11] op_sel_hi:[1,0]
	v_pk_fma_f32 v[118:119], v[34:35], s[6:7], v[118:119] op_sel:[0,0,1] op_sel_hi:[1,0,0] neg_lo:[0,0,1] neg_hi:[0,0,1]
	v_pk_fma_f32 v[110:111], v[44:45], s[0:1], v[108:109] op_sel:[0,0,1] op_sel_hi:[1,0,0]
	v_pk_fma_f32 v[108:109], v[44:45], s[0:1], v[108:109] op_sel:[0,0,1] op_sel_hi:[1,0,0] neg_lo:[0,0,1] neg_hi:[0,0,1]
	v_mov_b32_e32 v112, v110
	v_mov_b32_e32 v113, v109
	v_pk_add_f32 v[98:99], v[112:113], v[98:99]
	v_pk_mul_f32 v[112:113], v[14:15], s[14:15] op_sel_hi:[1,0]
	v_mov_b32_e32 v122, v120
	v_pk_fma_f32 v[114:115], v[48:49], s[12:13], v[112:113] op_sel:[0,0,1] op_sel_hi:[1,0,0]
	v_pk_fma_f32 v[112:113], v[48:49], s[12:13], v[112:113] op_sel:[0,0,1] op_sel_hi:[1,0,0] neg_lo:[0,0,1] neg_hi:[0,0,1]
	v_mov_b32_e32 v116, v114
	v_mov_b32_e32 v117, v113
	v_pk_add_f32 v[98:99], v[116:117], v[98:99]
	ds_write2_b64 v75, v[52:53], v[98:99] offset0:154 offset1:231
	v_pk_mul_f32 v[52:53], v[24:25], s[14:15] op_sel_hi:[1,0]
	v_mov_b32_e32 v123, v119
	v_pk_fma_f32 v[98:99], v[10:11], s[12:13], v[52:53] op_sel:[0,0,1] op_sel_hi:[1,0,0]
	v_pk_fma_f32 v[52:53], v[10:11], s[12:13], v[52:53] op_sel:[0,0,1] op_sel_hi:[1,0,0] neg_lo:[0,0,1] neg_hi:[0,0,1]
	v_mov_b32_e32 v116, v98
	v_mov_b32_e32 v117, v53
	v_pk_add_f32 v[116:117], v[0:1], v[116:117]
	v_pk_mul_f32 v[24:25], v[24:25], s[18:19] op_sel_hi:[1,0]
	v_pk_add_f32 v[116:117], v[122:123], v[116:117]
	v_pk_mul_f32 v[122:123], v[20:21], s[10:11] op_sel_hi:[1,0]
	v_pk_mul_f32 v[22:23], v[22:23], s[24:25] op_sel_hi:[1,0]
	v_pk_fma_f32 v[124:125], v[40:41], s[0:1], v[122:123] op_sel:[0,0,1] op_sel_hi:[1,0,0]
	v_pk_fma_f32 v[122:123], v[40:41], s[0:1], v[122:123] op_sel:[0,0,1] op_sel_hi:[1,0,0] neg_lo:[0,0,1] neg_hi:[0,0,1]
	v_mov_b32_e32 v128, v124
	v_mov_b32_e32 v129, v123
	v_pk_add_f32 v[116:117], v[128:129], v[116:117]
	v_pk_mul_f32 v[128:129], v[12:13], s[18:19] op_sel_hi:[1,0]
	v_pk_fma_f32 v[138:139], v[34:35], s[0:1], v[22:23] op_sel:[0,0,1] op_sel_hi:[1,0,0]
	v_pk_fma_f32 v[130:131], v[44:45], s[16:17], v[128:129] op_sel:[0,0,1] op_sel_hi:[1,0,0]
	v_pk_fma_f32 v[128:129], v[44:45], s[16:17], v[128:129] op_sel:[0,0,1] op_sel_hi:[1,0,0] neg_lo:[0,0,1] neg_hi:[0,0,1]
	v_mov_b32_e32 v132, v130
	v_mov_b32_e32 v133, v129
	v_pk_add_f32 v[116:117], v[132:133], v[116:117]
	v_pk_mul_f32 v[132:133], v[14:15], s[20:21] op_sel_hi:[1,0]
	v_pk_fma_f32 v[22:23], v[34:35], s[0:1], v[22:23] op_sel:[0,0,1] op_sel_hi:[1,0,0] neg_lo:[0,0,1] neg_hi:[0,0,1]
	v_pk_fma_f32 v[134:135], v[48:49], s[2:3], v[132:133] op_sel:[0,0,1] op_sel_hi:[1,0,0]
	v_pk_fma_f32 v[132:133], v[48:49], s[2:3], v[132:133] op_sel:[0,0,1] op_sel_hi:[1,0,0] neg_lo:[0,0,1] neg_hi:[0,0,1]
	v_mov_b32_e32 v136, v134
	v_mov_b32_e32 v137, v133
	v_pk_add_f32 v[116:117], v[136:137], v[116:117]
	v_pk_fma_f32 v[136:137], v[10:11], s[16:17], v[24:25] op_sel:[0,0,1] op_sel_hi:[1,0,0]
	v_pk_fma_f32 v[10:11], v[10:11], s[16:17], v[24:25] op_sel:[0,0,1] op_sel_hi:[1,0,0] neg_lo:[0,0,1] neg_hi:[0,0,1]
	v_mov_b32_e32 v24, v136
	v_mov_b32_e32 v25, v11
	v_pk_add_f32 v[24:25], v[0:1], v[24:25]
	v_mov_b32_e32 v34, v138
	v_mov_b32_e32 v35, v23
	v_pk_mul_f32 v[20:21], v[20:21], s[14:15] op_sel_hi:[1,0]
	v_pk_add_f32 v[24:25], v[34:35], v[24:25]
	v_pk_fma_f32 v[34:35], v[40:41], s[12:13], v[20:21] op_sel:[0,0,1] op_sel_hi:[1,0,0]
	v_pk_fma_f32 v[20:21], v[40:41], s[12:13], v[20:21] op_sel:[0,0,1] op_sel_hi:[1,0,0] neg_lo:[0,0,1] neg_hi:[0,0,1]
	v_mov_b32_e32 v11, v137
	v_mov_b32_e32 v40, v34
	;; [unrolled: 1-line block ×3, first 2 shown]
	v_pk_mul_f32 v[12:13], v[12:13], s[20:21] op_sel_hi:[1,0]
	v_pk_add_f32 v[10:11], v[0:1], v[10:11]
	v_mov_b32_e32 v23, v139
	v_pk_add_f32 v[24:25], v[40:41], v[24:25]
	v_pk_fma_f32 v[40:41], v[44:45], s[2:3], v[12:13] op_sel:[0,0,1] op_sel_hi:[1,0,0]
	v_pk_fma_f32 v[12:13], v[44:45], s[2:3], v[12:13] op_sel:[0,0,1] op_sel_hi:[1,0,0] neg_lo:[0,0,1] neg_hi:[0,0,1]
	v_pk_add_f32 v[10:11], v[22:23], v[10:11]
	v_mov_b32_e32 v21, v35
	v_mov_b32_e32 v45, v13
	v_pk_add_f32 v[10:11], v[20:21], v[10:11]
	v_mov_b32_e32 v13, v41
	v_mov_b32_e32 v53, v99
	v_pk_add_f32 v[10:11], v[12:13], v[10:11]
	v_pk_add_f32 v[12:13], v[0:1], v[52:53]
	v_mov_b32_e32 v119, v121
	v_mov_b32_e32 v44, v40
	v_pk_mul_f32 v[14:15], v[14:15], s[8:9] op_sel_hi:[1,0]
	v_pk_add_f32 v[12:13], v[118:119], v[12:13]
	v_mov_b32_e32 v123, v125
	v_pk_add_f32 v[24:25], v[44:45], v[24:25]
	v_pk_fma_f32 v[44:45], v[48:49], s[6:7], v[14:15] op_sel:[0,0,1] op_sel_hi:[1,0,0]
	v_pk_fma_f32 v[14:15], v[48:49], s[6:7], v[14:15] op_sel:[0,0,1] op_sel_hi:[1,0,0] neg_lo:[0,0,1] neg_hi:[0,0,1]
	v_pk_add_f32 v[12:13], v[122:123], v[12:13]
	v_mov_b32_e32 v129, v131
	v_mov_b32_e32 v49, v15
	v_mov_b32_e32 v15, v45
	v_pk_add_f32 v[12:13], v[128:129], v[12:13]
	v_mov_b32_e32 v133, v135
	v_pk_add_f32 v[10:11], v[14:15], v[10:11]
	v_pk_add_f32 v[12:13], v[132:133], v[12:13]
	v_mov_b32_e32 v95, v97
	v_mov_b32_e32 v3, v33
	;; [unrolled: 1-line block ×3, first 2 shown]
	ds_write2_b64 v127, v[10:11], v[12:13] offset0:78 offset1:155
	v_pk_add_f32 v[10:11], v[0:1], v[94:95]
	v_mov_b32_e32 v101, v103
	v_pk_add_f32 v[2:3], v[0:1], v[2:3]
	v_mov_b32_e32 v55, v57
	;; [unrolled: 2-line block ×9, first 2 shown]
	v_mov_b32_e32 v48, v44
	v_pk_add_f32 v[10:11], v[108:109], v[10:11]
	v_mov_b32_e32 v113, v115
	v_pk_add_f32 v[2:3], v[62:63], v[2:3]
	;; [unrolled: 2-line block ×4, first 2 shown]
	v_pk_add_f32 v[10:11], v[112:113], v[10:11]
	v_pk_add_f32 v[2:3], v[90:91], v[2:3]
	;; [unrolled: 1-line block ×3, first 2 shown]
	ds_write2_b64 v9, v[116:117], v[24:25] offset0:52 offset1:129
	ds_write2_b64 v8, v[10:11], v[2:3] offset0:104 offset1:181
	ds_write_b64 v75, v[0:1] offset:6160
	s_waitcnt lgkmcnt(0)
	s_barrier
	ds_read2_b64 v[0:3], v75 offset1:77
	v_mov_b32_e32 v10, v7
	v_mad_u64_u32 v[10:11], s[0:1], s7, v74, v[10:11]
	v_mov_b32_e32 v7, v10
	s_waitcnt lgkmcnt(0)
	v_mul_f32_e32 v10, v87, v1
	v_fmac_f32_e32 v10, v86, v0
	v_mul_f32_e32 v0, v87, v0
	s_mov_b32 s0, 0xe9078e5b
	v_fma_f32 v0, v86, v1, -v0
	v_cvt_f64_f32_e32 v[10:11], v10
	s_mov_b32 s1, 0x3f5357f3
	v_cvt_f64_f32_e32 v[0:1], v0
	v_mul_f64 v[10:11], v[10:11], s[0:1]
	v_mul_f64 v[0:1], v[0:1], s[0:1]
	v_cvt_f32_f64_e32 v10, v[10:11]
	v_cvt_f32_f64_e32 v11, v[0:1]
	v_mad_u64_u32 v[0:1], s[2:3], s4, v126, 0
	v_mov_b32_e32 v12, v1
	v_mad_u64_u32 v[12:13], s[2:3], s5, v126, v[12:13]
	v_mov_b32_e32 v1, v12
	v_lshl_add_u64 v[4:5], v[6:7], 3, v[4:5]
	v_lshl_add_u64 v[4:5], v[0:1], 3, v[4:5]
	v_mul_f32_e32 v0, v85, v3
	v_fmac_f32_e32 v0, v84, v2
	v_cvt_f64_f32_e32 v[0:1], v0
	v_mul_f64 v[0:1], v[0:1], s[0:1]
	v_cvt_f32_f64_e32 v6, v[0:1]
	v_mul_f32_e32 v0, v85, v2
	v_fma_f32 v0, v84, v3, -v0
	v_cvt_f64_f32_e32 v[0:1], v0
	v_mul_f64 v[0:1], v[0:1], s[0:1]
	v_cvt_f32_f64_e32 v7, v[0:1]
	ds_read2_b64 v[0:3], v75 offset0:154 offset1:231
	global_store_dwordx2 v[4:5], v[10:11], off
	v_mov_b32_e32 v10, 0x268
	v_mad_u64_u32 v[4:5], s[2:3], s4, v10, v[4:5]
	s_mulk_i32 s5, 0x268
	v_add_u32_e32 v5, s5, v5
	global_store_dwordx2 v[4:5], v[6:7], off
	s_waitcnt lgkmcnt(0)
	v_mul_f32_e32 v6, v81, v1
	v_fmac_f32_e32 v6, v80, v0
	v_mul_f32_e32 v0, v81, v0
	v_fma_f32 v0, v80, v1, -v0
	v_cvt_f64_f32_e32 v[6:7], v6
	v_cvt_f64_f32_e32 v[0:1], v0
	v_mul_f64 v[6:7], v[6:7], s[0:1]
	v_mul_f64 v[0:1], v[0:1], s[0:1]
	v_cvt_f32_f64_e32 v6, v[6:7]
	v_cvt_f32_f64_e32 v7, v[0:1]
	v_mul_f32_e32 v0, v77, v3
	v_fmac_f32_e32 v0, v76, v2
	v_mad_u64_u32 v[4:5], s[2:3], s4, v10, v[4:5]
	v_cvt_f64_f32_e32 v[0:1], v0
	v_add_u32_e32 v5, s5, v5
	v_mul_f64 v[0:1], v[0:1], s[0:1]
	global_store_dwordx2 v[4:5], v[6:7], off
	v_cvt_f32_f64_e32 v6, v[0:1]
	v_mul_f32_e32 v0, v77, v2
	v_fma_f32 v0, v76, v3, -v0
	v_cvt_f64_f32_e32 v[0:1], v0
	v_mul_f64 v[0:1], v[0:1], s[0:1]
	v_cvt_f32_f64_e32 v7, v[0:1]
	ds_read2_b64 v[0:3], v9 offset0:52 offset1:129
	v_mad_u64_u32 v[4:5], s[2:3], s4, v10, v[4:5]
	v_add_u32_e32 v5, s5, v5
	global_store_dwordx2 v[4:5], v[6:7], off
	s_waitcnt lgkmcnt(0)
	v_mul_f32_e32 v6, v83, v1
	v_fmac_f32_e32 v6, v82, v0
	v_mul_f32_e32 v0, v83, v0
	v_fma_f32 v0, v82, v1, -v0
	v_cvt_f64_f32_e32 v[6:7], v6
	v_cvt_f64_f32_e32 v[0:1], v0
	v_mul_f64 v[6:7], v[6:7], s[0:1]
	v_mul_f64 v[0:1], v[0:1], s[0:1]
	v_cvt_f32_f64_e32 v6, v[6:7]
	v_cvt_f32_f64_e32 v7, v[0:1]
	v_mul_f32_e32 v0, v79, v3
	v_fmac_f32_e32 v0, v78, v2
	v_mad_u64_u32 v[4:5], s[2:3], s4, v10, v[4:5]
	v_cvt_f64_f32_e32 v[0:1], v0
	v_add_u32_e32 v5, s5, v5
	v_mul_f64 v[0:1], v[0:1], s[0:1]
	global_store_dwordx2 v[4:5], v[6:7], off
	v_cvt_f32_f64_e32 v6, v[0:1]
	v_mul_f32_e32 v0, v79, v2
	v_fma_f32 v0, v78, v3, -v0
	v_cvt_f64_f32_e32 v[0:1], v0
	v_mul_f64 v[0:1], v[0:1], s[0:1]
	v_cvt_f32_f64_e32 v7, v[0:1]
	ds_read2_b64 v[0:3], v127 offset0:78 offset1:155
	v_mad_u64_u32 v[4:5], s[2:3], s4, v10, v[4:5]
	;; [unrolled: 28-line block ×3, first 2 shown]
	v_add_u32_e32 v5, s5, v5
	global_store_dwordx2 v[4:5], v[6:7], off
	s_waitcnt lgkmcnt(0)
	v_mul_f32_e32 v6, v69, v1
	v_fmac_f32_e32 v6, v68, v0
	v_mul_f32_e32 v0, v69, v0
	v_fma_f32 v0, v68, v1, -v0
	v_cvt_f64_f32_e32 v[6:7], v6
	v_cvt_f64_f32_e32 v[0:1], v0
	v_mul_f64 v[6:7], v[6:7], s[0:1]
	v_mul_f64 v[0:1], v[0:1], s[0:1]
	v_cvt_f32_f64_e32 v6, v[6:7]
	v_cvt_f32_f64_e32 v7, v[0:1]
	v_mad_u64_u32 v[0:1], s[2:3], s4, v10, v[4:5]
	v_mul_f32_e32 v4, v67, v3
	v_fmac_f32_e32 v4, v66, v2
	v_mul_f32_e32 v2, v67, v2
	v_fma_f32 v2, v66, v3, -v2
	v_cvt_f64_f32_e32 v[4:5], v4
	v_cvt_f64_f32_e32 v[2:3], v2
	v_mul_f64 v[4:5], v[4:5], s[0:1]
	v_mul_f64 v[2:3], v[2:3], s[0:1]
	v_cvt_f32_f64_e32 v4, v[4:5]
	v_cvt_f32_f64_e32 v5, v[2:3]
	ds_read_b64 v[2:3], v75 offset:6160
	v_add_u32_e32 v1, s5, v1
	global_store_dwordx2 v[0:1], v[6:7], off
	v_mad_u64_u32 v[0:1], s[2:3], s4, v10, v[0:1]
	v_add_u32_e32 v1, s5, v1
	global_store_dwordx2 v[0:1], v[4:5], off
	s_waitcnt lgkmcnt(0)
	v_mul_f32_e32 v4, v65, v3
	v_fmac_f32_e32 v4, v64, v2
	v_mul_f32_e32 v2, v65, v2
	v_fma_f32 v2, v64, v3, -v2
	v_cvt_f64_f32_e32 v[4:5], v4
	v_cvt_f64_f32_e32 v[2:3], v2
	v_mul_f64 v[4:5], v[4:5], s[0:1]
	v_mul_f64 v[2:3], v[2:3], s[0:1]
	v_mad_u64_u32 v[0:1], s[0:1], s4, v10, v[0:1]
	v_cvt_f32_f64_e32 v4, v[4:5]
	v_cvt_f32_f64_e32 v5, v[2:3]
	v_add_u32_e32 v1, s5, v1
	global_store_dwordx2 v[0:1], v[4:5], off
.LBB0_10:
	s_endpgm
	.section	.rodata,"a",@progbits
	.p2align	6, 0x0
	.amdhsa_kernel bluestein_single_fwd_len847_dim1_sp_op_CI_CI
		.amdhsa_group_segment_fixed_size 20328
		.amdhsa_private_segment_fixed_size 0
		.amdhsa_kernarg_size 104
		.amdhsa_user_sgpr_count 2
		.amdhsa_user_sgpr_dispatch_ptr 0
		.amdhsa_user_sgpr_queue_ptr 0
		.amdhsa_user_sgpr_kernarg_segment_ptr 1
		.amdhsa_user_sgpr_dispatch_id 0
		.amdhsa_user_sgpr_kernarg_preload_length 0
		.amdhsa_user_sgpr_kernarg_preload_offset 0
		.amdhsa_user_sgpr_private_segment_size 0
		.amdhsa_uses_dynamic_stack 0
		.amdhsa_enable_private_segment 0
		.amdhsa_system_sgpr_workgroup_id_x 1
		.amdhsa_system_sgpr_workgroup_id_y 0
		.amdhsa_system_sgpr_workgroup_id_z 0
		.amdhsa_system_sgpr_workgroup_info 0
		.amdhsa_system_vgpr_workitem_id 0
		.amdhsa_next_free_vgpr 206
		.amdhsa_next_free_sgpr 50
		.amdhsa_accum_offset 208
		.amdhsa_reserve_vcc 1
		.amdhsa_float_round_mode_32 0
		.amdhsa_float_round_mode_16_64 0
		.amdhsa_float_denorm_mode_32 3
		.amdhsa_float_denorm_mode_16_64 3
		.amdhsa_dx10_clamp 1
		.amdhsa_ieee_mode 1
		.amdhsa_fp16_overflow 0
		.amdhsa_tg_split 0
		.amdhsa_exception_fp_ieee_invalid_op 0
		.amdhsa_exception_fp_denorm_src 0
		.amdhsa_exception_fp_ieee_div_zero 0
		.amdhsa_exception_fp_ieee_overflow 0
		.amdhsa_exception_fp_ieee_underflow 0
		.amdhsa_exception_fp_ieee_inexact 0
		.amdhsa_exception_int_div_zero 0
	.end_amdhsa_kernel
	.text
.Lfunc_end0:
	.size	bluestein_single_fwd_len847_dim1_sp_op_CI_CI, .Lfunc_end0-bluestein_single_fwd_len847_dim1_sp_op_CI_CI
                                        ; -- End function
	.section	.AMDGPU.csdata,"",@progbits
; Kernel info:
; codeLenInByte = 14008
; NumSgprs: 56
; NumVgprs: 206
; NumAgprs: 0
; TotalNumVgprs: 206
; ScratchSize: 0
; MemoryBound: 0
; FloatMode: 240
; IeeeMode: 1
; LDSByteSize: 20328 bytes/workgroup (compile time only)
; SGPRBlocks: 6
; VGPRBlocks: 25
; NumSGPRsForWavesPerEU: 56
; NumVGPRsForWavesPerEU: 206
; AccumOffset: 208
; Occupancy: 2
; WaveLimiterHint : 1
; COMPUTE_PGM_RSRC2:SCRATCH_EN: 0
; COMPUTE_PGM_RSRC2:USER_SGPR: 2
; COMPUTE_PGM_RSRC2:TRAP_HANDLER: 0
; COMPUTE_PGM_RSRC2:TGID_X_EN: 1
; COMPUTE_PGM_RSRC2:TGID_Y_EN: 0
; COMPUTE_PGM_RSRC2:TGID_Z_EN: 0
; COMPUTE_PGM_RSRC2:TIDIG_COMP_CNT: 0
; COMPUTE_PGM_RSRC3_GFX90A:ACCUM_OFFSET: 51
; COMPUTE_PGM_RSRC3_GFX90A:TG_SPLIT: 0
	.text
	.p2alignl 6, 3212836864
	.fill 256, 4, 3212836864
	.type	__hip_cuid_d45b77925a2f4a56,@object ; @__hip_cuid_d45b77925a2f4a56
	.section	.bss,"aw",@nobits
	.globl	__hip_cuid_d45b77925a2f4a56
__hip_cuid_d45b77925a2f4a56:
	.byte	0                               ; 0x0
	.size	__hip_cuid_d45b77925a2f4a56, 1

	.ident	"AMD clang version 19.0.0git (https://github.com/RadeonOpenCompute/llvm-project roc-6.4.0 25133 c7fe45cf4b819c5991fe208aaa96edf142730f1d)"
	.section	".note.GNU-stack","",@progbits
	.addrsig
	.addrsig_sym __hip_cuid_d45b77925a2f4a56
	.amdgpu_metadata
---
amdhsa.kernels:
  - .agpr_count:     0
    .args:
      - .actual_access:  read_only
        .address_space:  global
        .offset:         0
        .size:           8
        .value_kind:     global_buffer
      - .actual_access:  read_only
        .address_space:  global
        .offset:         8
        .size:           8
        .value_kind:     global_buffer
      - .actual_access:  read_only
        .address_space:  global
        .offset:         16
        .size:           8
        .value_kind:     global_buffer
      - .actual_access:  read_only
        .address_space:  global
        .offset:         24
        .size:           8
        .value_kind:     global_buffer
      - .actual_access:  read_only
        .address_space:  global
        .offset:         32
        .size:           8
        .value_kind:     global_buffer
      - .offset:         40
        .size:           8
        .value_kind:     by_value
      - .address_space:  global
        .offset:         48
        .size:           8
        .value_kind:     global_buffer
      - .address_space:  global
        .offset:         56
        .size:           8
        .value_kind:     global_buffer
      - .address_space:  global
        .offset:         64
        .size:           8
        .value_kind:     global_buffer
      - .address_space:  global
        .offset:         72
        .size:           8
        .value_kind:     global_buffer
      - .offset:         80
        .size:           4
        .value_kind:     by_value
      - .address_space:  global
        .offset:         88
        .size:           8
        .value_kind:     global_buffer
      - .address_space:  global
        .offset:         96
        .size:           8
        .value_kind:     global_buffer
    .group_segment_fixed_size: 20328
    .kernarg_segment_align: 8
    .kernarg_segment_size: 104
    .language:       OpenCL C
    .language_version:
      - 2
      - 0
    .max_flat_workgroup_size: 231
    .name:           bluestein_single_fwd_len847_dim1_sp_op_CI_CI
    .private_segment_fixed_size: 0
    .sgpr_count:     56
    .sgpr_spill_count: 0
    .symbol:         bluestein_single_fwd_len847_dim1_sp_op_CI_CI.kd
    .uniform_work_group_size: 1
    .uses_dynamic_stack: false
    .vgpr_count:     206
    .vgpr_spill_count: 0
    .wavefront_size: 64
amdhsa.target:   amdgcn-amd-amdhsa--gfx950
amdhsa.version:
  - 1
  - 2
...

	.end_amdgpu_metadata
